;; amdgpu-corpus repo=ROCm/rocFFT kind=compiled arch=gfx1201 opt=O3
	.text
	.amdgcn_target "amdgcn-amd-amdhsa--gfx1201"
	.amdhsa_code_object_version 6
	.protected	bluestein_single_fwd_len891_dim1_half_op_CI_CI ; -- Begin function bluestein_single_fwd_len891_dim1_half_op_CI_CI
	.globl	bluestein_single_fwd_len891_dim1_half_op_CI_CI
	.p2align	8
	.type	bluestein_single_fwd_len891_dim1_half_op_CI_CI,@function
bluestein_single_fwd_len891_dim1_half_op_CI_CI: ; @bluestein_single_fwd_len891_dim1_half_op_CI_CI
; %bb.0:
	s_load_b128 s[16:19], s[0:1], 0x28
	v_mul_u32_u24_e32 v1, 0x296, v0
	v_mov_b32_e32 v9, 0
	s_mov_b32 s2, exec_lo
	s_delay_alu instid0(VALU_DEP_2) | instskip(NEXT) | instid1(VALU_DEP_1)
	v_lshrrev_b32_e32 v1, 16, v1
	v_lshl_add_u32 v8, ttmp9, 1, v1
	s_wait_kmcnt 0x0
	s_delay_alu instid0(VALU_DEP_1)
	v_cmpx_gt_u64_e64 s[16:17], v[8:9]
	s_cbranch_execz .LBB0_10
; %bb.1:
	s_clause 0x1
	s_load_b128 s[4:7], s[0:1], 0x18
	s_load_b128 s[8:11], s[0:1], 0x0
	v_mul_lo_u16 v2, 0x63, v1
                                        ; implicit-def: $vgpr79
                                        ; implicit-def: $vgpr78
                                        ; implicit-def: $vgpr80
	s_delay_alu instid0(VALU_DEP_1)
	v_sub_nc_u16 v11, v0, v2
	s_wait_kmcnt 0x0
	s_load_b128 s[12:15], s[4:5], 0x0
	s_wait_kmcnt 0x0
	v_mad_co_u64_u32 v[2:3], null, s14, v8, 0
	v_and_b32_e32 v43, 0xffff, v11
	s_mul_u64 s[2:3], s[12:13], 0x18c
	s_delay_alu instid0(VALU_DEP_2) | instskip(NEXT) | instid1(VALU_DEP_2)
	v_mov_b32_e32 v0, v3
	v_mad_co_u64_u32 v[4:5], null, s12, v43, 0
	v_lshlrev_b32_e32 v21, 2, v43
	s_clause 0x7
	global_load_b32 v48, v21, s[8:9]
	global_load_b32 v47, v21, s[8:9] offset:396
	global_load_b32 v45, v21, s[8:9] offset:792
	;; [unrolled: 1-line block ×7, first 2 shown]
	v_mov_b32_e32 v3, v5
	v_mad_co_u64_u32 v[5:6], null, s15, v8, v[0:1]
	s_delay_alu instid0(VALU_DEP_2) | instskip(NEXT) | instid1(VALU_DEP_2)
	v_mad_co_u64_u32 v[6:7], null, s13, v43, v[3:4]
	v_mov_b32_e32 v3, v5
	s_delay_alu instid0(VALU_DEP_2) | instskip(NEXT) | instid1(VALU_DEP_2)
	v_mov_b32_e32 v5, v6
	v_lshlrev_b64_e32 v[2:3], 2, v[2:3]
	s_delay_alu instid0(VALU_DEP_2) | instskip(NEXT) | instid1(VALU_DEP_2)
	v_lshlrev_b64_e32 v[4:5], 2, v[4:5]
	v_add_co_u32 v0, vcc_lo, s18, v2
	s_delay_alu instid0(VALU_DEP_3) | instskip(NEXT) | instid1(VALU_DEP_2)
	v_add_co_ci_u32_e32 v3, vcc_lo, s19, v3, vcc_lo
	v_add_co_u32 v2, vcc_lo, v0, v4
	s_wait_alu 0xfffd
	s_delay_alu instid0(VALU_DEP_2) | instskip(SKIP_1) | instid1(VALU_DEP_3)
	v_add_co_ci_u32_e32 v3, vcc_lo, v3, v5, vcc_lo
	v_and_b32_e32 v0, 1, v1
	v_add_co_u32 v4, vcc_lo, v2, s2
	s_wait_alu 0xfffd
	s_delay_alu instid0(VALU_DEP_3)
	v_add_co_ci_u32_e32 v5, vcc_lo, s3, v3, vcc_lo
	global_load_b32 v6, v[2:3], off
	v_add_co_u32 v2, vcc_lo, v4, s2
	s_wait_alu 0xfffd
	v_add_co_ci_u32_e32 v3, vcc_lo, s3, v5, vcc_lo
	global_load_b32 v7, v[4:5], off
	global_load_b32 v31, v21, s[8:9] offset:3168
	global_load_b32 v9, v[2:3], off
	v_add_co_u32 v2, vcc_lo, v2, s2
	s_wait_alu 0xfffd
	v_add_co_ci_u32_e32 v3, vcc_lo, s3, v3, vcc_lo
	s_delay_alu instid0(VALU_DEP_2) | instskip(SKIP_1) | instid1(VALU_DEP_2)
	v_add_co_u32 v4, vcc_lo, v2, s2
	s_wait_alu 0xfffd
	v_add_co_ci_u32_e32 v5, vcc_lo, s3, v3, vcc_lo
	s_clause 0x1
	global_load_b32 v10, v[2:3], off
	global_load_b32 v12, v[4:5], off
	v_add_co_u32 v2, vcc_lo, v4, s2
	s_wait_alu 0xfffd
	v_add_co_ci_u32_e32 v3, vcc_lo, s3, v5, vcc_lo
	s_delay_alu instid0(VALU_DEP_2) | instskip(SKIP_1) | instid1(VALU_DEP_2)
	v_add_co_u32 v4, vcc_lo, v2, s2
	s_wait_alu 0xfffd
	v_add_co_ci_u32_e32 v5, vcc_lo, s3, v3, vcc_lo
	global_load_b32 v13, v[2:3], off
	v_add_co_u32 v2, vcc_lo, v4, s2
	s_wait_alu 0xfffd
	v_add_co_ci_u32_e32 v3, vcc_lo, s3, v5, vcc_lo
	global_load_b32 v14, v[4:5], off
	;; [unrolled: 4-line block ×3, first 2 shown]
	global_load_b32 v3, v[4:5], off
	v_cmp_eq_u32_e32 vcc_lo, 1, v0
	s_load_b128 s[4:7], s[6:7], 0x0
	s_load_b64 s[2:3], s[0:1], 0x38
	v_cndmask_b32_e64 v0, 0, 0x37b, vcc_lo
	v_cmp_gt_u16_e32 vcc_lo, 0x51, v11
	s_delay_alu instid0(VALU_DEP_2) | instskip(NEXT) | instid1(VALU_DEP_1)
	v_lshlrev_b32_e32 v51, 2, v0
	v_add_nc_u32_e32 v34, v51, v21
	s_delay_alu instid0(VALU_DEP_1)
	v_add_nc_u32_e32 v1, 0x400, v34
	v_add_nc_u32_e32 v4, 0x200, v34
	;; [unrolled: 1-line block ×3, first 2 shown]
	s_wait_loadcnt 0x11
	v_lshrrev_b32_e32 v50, 16, v48
	s_wait_loadcnt 0x10
	v_lshrrev_b32_e32 v49, 16, v47
	;; [unrolled: 2-line block ×9, first 2 shown]
	v_mul_f16_e32 v15, v50, v6
	s_wait_loadcnt 0x8
	v_lshrrev_b32_e32 v17, 16, v7
	s_delay_alu instid0(VALU_DEP_3) | instskip(NEXT) | instid1(VALU_DEP_3)
	v_mul_f16_e32 v16, v50, v5
	v_fma_f16 v5, v48, v5, -v15
	s_wait_loadcnt 0x6
	v_lshrrev_b32_e32 v15, 16, v9
	v_mul_f16_e32 v18, v49, v7
	v_lshrrev_b32_e32 v32, 16, v31
	v_fmac_f16_e32 v16, v48, v6
	v_mul_f16_e32 v6, v49, v17
	s_delay_alu instid0(VALU_DEP_4) | instskip(SKIP_1) | instid1(VALU_DEP_4)
	v_fma_f16 v17, v47, v17, -v18
	v_mul_f16_e32 v18, v46, v9
	v_pack_b32_f16 v5, v16, v5
	s_delay_alu instid0(VALU_DEP_4)
	v_fmac_f16_e32 v6, v47, v7
	v_mul_f16_e32 v7, v46, v15
	s_wait_loadcnt 0x5
	v_lshrrev_b32_e32 v16, 16, v10
	v_mul_f16_e32 v19, v44, v10
	v_fma_f16 v15, v45, v15, -v18
	v_pack_b32_f16 v6, v6, v17
	v_fmac_f16_e32 v7, v45, v9
	v_mul_f16_e32 v9, v44, v16
	v_fma_f16 v16, v42, v16, -v19
	s_wait_loadcnt 0x4
	v_lshrrev_b32_e32 v17, 16, v12
	v_mul_f16_e32 v18, v41, v12
	v_pack_b32_f16 v7, v7, v15
	v_fmac_f16_e32 v9, v42, v10
	s_wait_loadcnt 0x3
	v_lshrrev_b32_e32 v10, 16, v13
	v_mul_f16_e32 v15, v41, v17
	v_fma_f16 v17, v40, v17, -v18
	v_mul_f16_e32 v18, v39, v13
	v_pack_b32_f16 v9, v9, v16
	v_mul_f16_e32 v16, v39, v10
	v_fmac_f16_e32 v15, v40, v12
	s_wait_loadcnt 0x2
	v_lshrrev_b32_e32 v12, 16, v14
	v_fma_f16 v10, v38, v10, -v18
	v_mul_f16_e32 v18, v37, v14
	v_fmac_f16_e32 v16, v38, v13
	s_wait_loadcnt 0x1
	v_lshrrev_b32_e32 v13, 16, v2
	s_wait_loadcnt 0x0
	v_lshrrev_b32_e32 v20, 16, v3
	v_mul_f16_e32 v19, v37, v12
	v_fma_f16 v12, v36, v12, -v18
	v_mul_f16_e32 v18, v35, v2
	v_mul_f16_e32 v22, v35, v13
	;; [unrolled: 1-line block ×4, first 2 shown]
	v_fmac_f16_e32 v19, v36, v14
	v_fma_f16 v13, v33, v13, -v18
	v_fmac_f16_e32 v22, v33, v2
	v_fma_f16 v2, v31, v20, -v23
	v_fmac_f16_e32 v24, v31, v3
	v_pack_b32_f16 v3, v15, v17
	v_pack_b32_f16 v10, v16, v10
	;; [unrolled: 1-line block ×5, first 2 shown]
	ds_store_2addr_b32 v34, v5, v6 offset1:99
	ds_store_2addr_b32 v4, v7, v9 offset0:70 offset1:169
	ds_store_2addr_b32 v1, v3, v10 offset0:140 offset1:239
	;; [unrolled: 1-line block ×3, first 2 shown]
	ds_store_b32 v34, v2 offset:3168
	global_wb scope:SCOPE_SE
	s_wait_dscnt 0x0
	s_wait_kmcnt 0x0
	s_barrier_signal -1
	s_barrier_wait -1
	global_inv scope:SCOPE_SE
	ds_load_2addr_b32 v[2:3], v34 offset1:99
	ds_load_2addr_b32 v[4:5], v4 offset0:70 offset1:169
	ds_load_b32 v12, v34 offset:3168
	ds_load_2addr_b32 v[6:7], v0 offset0:82 offset1:181
	ds_load_2addr_b32 v[9:10], v1 offset0:140 offset1:239
	v_mul_lo_u16 v13, v11, 9
	global_wb scope:SCOPE_SE
	s_wait_dscnt 0x0
	s_barrier_signal -1
	s_barrier_wait -1
	global_inv scope:SCOPE_SE
	v_and_b32_e32 v11, 0xffff, v13
	s_delay_alu instid0(VALU_DEP_1)
	v_lshl_add_u32 v54, v11, 2, v51
	v_lshrrev_b32_e32 v15, 16, v2
	v_pk_add_f16 v11, v3, v12
	v_pk_add_f16 v13, v4, v7
	;; [unrolled: 1-line block ×3, first 2 shown]
	v_pk_add_f16 v4, v4, v7 neg_lo:[0,1] neg_hi:[0,1]
	v_pk_add_f16 v5, v5, v6 neg_lo:[0,1] neg_hi:[0,1]
	;; [unrolled: 1-line block ×3, first 2 shown]
	v_pk_add_f16 v7, v9, v10
	v_pk_add_f16 v3, v3, v12 neg_lo:[0,1] neg_hi:[0,1]
	v_pk_add_f16 v18, v13, v11
	v_lshrrev_b32_e32 v12, 16, v11
	v_pk_mul_f16 v30, 0xb924, v6 op_sel_hi:[0,1]
	v_pk_fma_f16 v52, 0x3a21, v7, v2 op_sel_hi:[0,1,1]
	v_mul_f16_e32 v22, 0x3924, v3
	v_lshrrev_b32_e32 v25, 16, v3
	v_fmamk_f16 v16, v11, 0x3a21, v2
	v_lshrrev_b32_e32 v17, 16, v13
	v_lshrrev_b32_e32 v27, 16, v6
	v_mul_f16_e32 v53, 0x3be1, v6
	v_fmamk_f16 v19, v13, 0x3a21, v2
	v_pk_add_f16 v56, v6, v3
	v_pk_add_f16 v58, v14, v18
	v_pk_fma_f16 v30, 0x3be1, v3, v30 op_sel_hi:[0,1,1]
	v_pk_fma_f16 v52, 0x318f, v11, v52 op_sel_hi:[0,1,1]
	v_pk_mul_f16 v20, 0x3aee, v5 op_sel_hi:[0,1]
	v_lshrrev_b32_e32 v26, 16, v4
	v_pk_mul_f16 v28, v14, 0.5 op_sel_hi:[1,0]
	v_fmamk_f16 v57, v12, 0x3a21, v15
	v_mul_f16_e32 v59, 0x3924, v25
	v_fmac_f16_e32 v22, 0x3be1, v4
	v_lshrrev_b32_e32 v29, 16, v7
	v_fmac_f16_e32 v16, 0x318f, v13
	v_fmac_f16_e32 v15, 0x3a21, v17
	v_mul_f16_e32 v62, 0x3be1, v27
	v_fma_f16 v53, v4, 0xb924, -v53
	v_pk_add_f16 v55, v14, v2
	v_fmac_f16_e32 v19, 0x318f, v7
	v_pk_add_f16 v56, v56, v4 neg_lo:[0,1] neg_hi:[0,1]
	v_pk_add_f16 v18, v7, v18
	v_pk_add_f16 v9, v9, v58
	v_pk_fma_f16 v5, 0x3aee, v5, v30 op_sel_hi:[0,1,1] neg_lo:[0,1,0] neg_hi:[0,1,0]
	v_pk_fma_f16 v14, v14, 0.5, v52 op_sel_hi:[1,0,1] neg_lo:[1,0,0] neg_hi:[1,0,0]
	v_lshrrev_b32_e32 v60, 16, v20
	v_lshrrev_b32_e32 v61, 16, v28
	v_fmac_f16_e32 v57, 0x318f, v17
	v_fmac_f16_e32 v59, 0x3be1, v26
	v_add_f16_e32 v58, v20, v22
	v_sub_f16_e32 v16, v16, v28
	v_fma_f16 v17, v26, 0xb924, -v62
	v_add_f16_e32 v20, v20, v53
	v_fmac_f16_e32 v15, 0x318f, v29
	v_sub_f16_e32 v19, v19, v28
	v_pk_mul_f16 v26, 0x3aee, v56 op_sel_hi:[0,1]
	v_pk_fma_f16 v18, v18, 0.5, v55 op_sel_hi:[1,0,1] neg_lo:[1,0,0] neg_hi:[1,0,0]
	v_pk_add_f16 v9, v10, v9
	v_pk_fma_f16 v4, 0x3579, v4, v5 op_sel_hi:[0,1,1]
	v_pk_fma_f16 v5, 0xbb84, v13, v14 op_sel_hi:[0,1,1]
	v_add_f16_e32 v10, v60, v59
	v_fmac_f16_e32 v58, 0x3579, v6
	v_sub_f16_e32 v6, v57, v61
	v_fmac_f16_e32 v16, 0xbb84, v7
	v_add_f16_e32 v7, v60, v17
	v_fmac_f16_e32 v20, 0x3579, v3
	v_sub_f16_e32 v3, v15, v61
	v_fmac_f16_e32 v19, 0xbb84, v11
	v_pk_add_f16 v17, v18, v26 op_sel:[0,1] op_sel_hi:[1,0] neg_lo:[0,1] neg_hi:[0,1]
	v_pk_add_f16 v11, v9, v2
	v_pk_add_f16 v2, v5, v4 op_sel:[0,1] op_sel_hi:[1,0] neg_lo:[0,1] neg_hi:[0,1]
	v_fmac_f16_e32 v10, 0x3579, v27
	v_fmac_f16_e32 v6, 0xbb84, v29
	v_pk_add_f16 v14, v18, v26 op_sel:[0,1] op_sel_hi:[1,0]
	v_fmac_f16_e32 v7, 0x3579, v25
	v_fmac_f16_e32 v3, 0xbb84, v12
	v_pk_add_f16 v13, v5, v4 op_sel:[0,1] op_sel_hi:[1,0]
	v_lshrrev_b32_e32 v22, 16, v17
	v_mov_b32_e32 v15, v14
	v_lshrrev_b32_e32 v71, 16, v2
	v_add_f16_e32 v12, v10, v16
	v_sub_f16_e32 v70, v6, v58
	v_lshrrev_b32_e32 v18, 16, v26
	v_bfi_b32 v9, 0xffff, v14, v17
	v_add_f16_e32 v17, v7, v19
	v_sub_f16_e32 v74, v3, v20
	v_lshrrev_b32_e32 v5, 16, v4
	v_dual_mov_b32 v16, v13 :: v_dual_mov_b32 v75, v22
	v_mov_b32_e32 v76, v71
	v_fma_f16 v19, -2.0, v10, v12
	v_fma_f16 v53, 2.0, v58, v70
	v_add_co_u32 v23, s0, s8, v21
	v_fmac_f16_e32 v15, -2.0, v18
	v_fma_f16 v18, -2.0, v7, v17
	v_fma_f16 v77, 2.0, v20, v74
	v_fmac_f16_e32 v16, -2.0, v5
	v_fmac_f16_e32 v75, 2.0, v26
	v_fmac_f16_e32 v76, 2.0, v4
	s_wait_alu 0xf1ff
	v_add_co_ci_u32_e64 v24, null, s9, 0, s0
	v_pack_b32_f16 v3, v19, v53
	v_bfi_b32 v6, 0xffff, v13, v2
	v_pack_b32_f16 v2, v12, v70
	v_pack_b32_f16 v4, v17, v74
	;; [unrolled: 1-line block ×5, first 2 shown]
	ds_store_b32 v54, v3 offset:32
	ds_store_2addr_b32 v54, v11, v2 offset1:1
	ds_store_2addr_b32 v54, v6, v9 offset0:2 offset1:3
	ds_store_2addr_b32 v54, v4, v5 offset0:4 offset1:5
	;; [unrolled: 1-line block ×3, first 2 shown]
	global_wb scope:SCOPE_SE
	s_wait_dscnt 0x0
	s_barrier_signal -1
	s_barrier_wait -1
	global_inv scope:SCOPE_SE
	s_and_saveexec_b32 s0, vcc_lo
	s_cbranch_execz .LBB0_3
; %bb.2:
	v_add_nc_u32_e32 v2, 0x600, v34
	ds_load_2addr_b32 v[11:12], v34 offset1:81
	ds_load_2addr_b32 v[13:14], v34 offset0:162 offset1:243
	ds_load_2addr_b32 v[17:18], v1 offset0:68 offset1:149
	;; [unrolled: 1-line block ×4, first 2 shown]
	ds_load_b32 v78, v34 offset:3240
	s_wait_dscnt 0x5
	v_lshrrev_b32_e32 v70, 16, v12
	s_wait_dscnt 0x4
	v_lshrrev_b32_e32 v71, 16, v13
	v_lshrrev_b32_e32 v22, 16, v14
	s_wait_dscnt 0x3
	v_lshrrev_b32_e32 v74, 16, v17
	;; [unrolled: 3-line block ×5, first 2 shown]
.LBB0_3:
	s_wait_alu 0xfffe
	s_or_b32 exec_lo, exec_lo, s0
	v_and_b32_e32 v0, 0xff, v43
	v_lshrrev_b32_e32 v27, 16, v11
	s_delay_alu instid0(VALU_DEP_2) | instskip(NEXT) | instid1(VALU_DEP_1)
	v_mul_lo_u16 v0, v0, 57
	v_lshrrev_b16 v114, 9, v0
	s_delay_alu instid0(VALU_DEP_1) | instskip(NEXT) | instid1(VALU_DEP_1)
	v_mul_lo_u16 v0, v114, 9
	v_sub_nc_u16 v0, v43, v0
	s_delay_alu instid0(VALU_DEP_1) | instskip(NEXT) | instid1(VALU_DEP_1)
	v_and_b32_e32 v52, 0xff, v0
	v_mul_u32_u24_e32 v0, 10, v52
	s_delay_alu instid0(VALU_DEP_1)
	v_lshlrev_b32_e32 v9, 2, v0
	s_clause 0x2
	global_load_b128 v[4:7], v9, s[10:11]
	global_load_b128 v[0:3], v9, s[10:11] offset:16
	global_load_b64 v[9:10], v9, s[10:11] offset:32
	global_wb scope:SCOPE_SE
	s_wait_loadcnt 0x0
	s_barrier_signal -1
	s_barrier_wait -1
	global_inv scope:SCOPE_SE
	v_lshrrev_b32_e32 v63, 16, v4
	v_lshrrev_b32_e32 v61, 16, v5
	;; [unrolled: 1-line block ×5, first 2 shown]
	v_mul_f16_e32 v72, v70, v63
	v_mul_f16_e32 v69, v12, v63
	;; [unrolled: 1-line block ×4, first 2 shown]
	v_lshrrev_b32_e32 v55, 16, v0
	v_lshrrev_b32_e32 v60, 16, v3
	v_mul_f16_e32 v81, v71, v61
	v_mul_f16_e32 v68, v13, v61
	;; [unrolled: 1-line block ×4, first 2 shown]
	v_fma_f16 v73, v12, v4, -v72
	v_fmac_f16_e32 v69, v70, v4
	v_fma_f16 v12, v78, v10, -v89
	v_fmac_f16_e32 v25, v80, v10
	v_lshrrev_b32_e32 v57, 16, v7
	v_lshrrev_b32_e32 v56, 16, v1
	v_lshrrev_b32_e32 v58, 16, v2
	v_mul_f16_e32 v82, v22, v59
	v_mul_f16_e32 v67, v14, v59
	;; [unrolled: 1-line block ×5, first 2 shown]
	v_fma_f16 v72, v13, v5, -v81
	v_fmac_f16_e32 v68, v71, v5
	v_fma_f16 v13, v20, v9, -v88
	v_fmac_f16_e32 v26, v79, v9
	v_sub_f16_e32 v92, v73, v12
	v_sub_f16_e32 v104, v69, v25
	v_mul_f16_e32 v83, v74, v57
	v_mul_f16_e32 v66, v17, v57
	;; [unrolled: 1-line block ×7, first 2 shown]
	v_fma_f16 v71, v14, v6, -v82
	v_fmac_f16_e32 v67, v22, v6
	v_fma_f16 v18, v18, v0, -v84
	v_fma_f16 v14, v19, v3, -v87
	v_fmac_f16_e32 v28, v53, v3
	v_add_f16_e32 v87, v73, v12
	v_add_f16_e32 v109, v69, v25
	v_sub_f16_e32 v93, v72, v13
	v_sub_f16_e32 v105, v68, v26
	v_mul_f16_e32 v82, 0xb853, v104
	v_mul_f16_e32 v84, 0xb853, v92
	;; [unrolled: 1-line block ×4, first 2 shown]
	v_fma_f16 v70, v17, v7, -v83
	v_fmac_f16_e32 v66, v74, v7
	v_fma_f16 v17, v15, v1, -v85
	v_fmac_f16_e32 v30, v75, v1
	;; [unrolled: 2-line block ×3, first 2 shown]
	v_add_f16_e32 v89, v72, v13
	v_add_f16_e32 v112, v68, v26
	v_sub_f16_e32 v97, v71, v14
	v_sub_f16_e32 v108, v67, v28
	v_mul_f16_e32 v80, 0xbb47, v105
	v_mul_f16_e32 v83, 0xbb47, v93
	;; [unrolled: 1-line block ×4, first 2 shown]
	v_fmamk_f16 v22, v87, 0x3abb, v82
	v_fma_f16 v53, v109, 0x3abb, -v84
	v_fmamk_f16 v75, v87, 0x36a6, v96
	v_fma_f16 v78, v109, 0x36a6, -v103
	v_fmac_f16_e32 v65, v77, v0
	v_add_f16_e32 v90, v71, v14
	v_add_f16_e32 v110, v67, v28
	v_sub_f16_e32 v101, v70, v15
	v_sub_f16_e32 v111, v66, v29
	v_mul_f16_e32 v76, 0xbbeb, v108
	v_mul_f16_e32 v81, 0xbbeb, v97
	;; [unrolled: 1-line block ×4, first 2 shown]
	v_fmamk_f16 v79, v89, 0x36a6, v80
	v_fma_f16 v115, v112, 0x36a6, -v83
	v_fmamk_f16 v116, v89, 0xb93d, v94
	v_fma_f16 v117, v112, 0xb93d, -v102
	v_add_f16_e32 v22, v11, v22
	v_add_f16_e32 v53, v27, v53
	;; [unrolled: 1-line block ×6, first 2 shown]
	v_sub_f16_e32 v99, v18, v17
	v_sub_f16_e32 v107, v65, v30
	v_mul_f16_e32 v20, 0xba0c, v111
	v_mul_f16_e32 v77, 0xba0c, v101
	;; [unrolled: 1-line block ×4, first 2 shown]
	v_fmamk_f16 v118, v90, 0xb08e, v76
	v_fma_f16 v119, v110, 0xb08e, -v81
	v_fmamk_f16 v120, v90, 0xbbad, v88
	v_fma_f16 v121, v110, 0xbbad, -v100
	v_add_f16_e32 v22, v79, v22
	v_add_f16_e32 v53, v115, v53
	;; [unrolled: 1-line block ×6, first 2 shown]
	v_mul_f16_e32 v16, 0xb482, v107
	v_mul_f16_e32 v74, 0xb482, v99
	;; [unrolled: 1-line block ×4, first 2 shown]
	v_fmamk_f16 v122, v91, 0xb93d, v20
	v_fma_f16 v123, v113, 0xb93d, -v77
	v_fmamk_f16 v124, v91, 0xb08e, v86
	v_fma_f16 v125, v113, 0xb08e, -v98
	v_add_f16_e32 v22, v118, v22
	v_add_f16_e32 v53, v119, v53
	;; [unrolled: 1-line block ×4, first 2 shown]
	v_fmamk_f16 v126, v85, 0xbbad, v16
	v_fma_f16 v127, v106, 0xbbad, -v74
	v_fmamk_f16 v115, v85, 0x3abb, v19
	v_fma_f16 v116, v106, 0x3abb, -v95
	v_add_f16_e32 v22, v122, v22
	v_add_f16_e32 v53, v123, v53
	;; [unrolled: 1-line block ×4, first 2 shown]
	s_delay_alu instid0(VALU_DEP_4) | instskip(NEXT) | instid1(VALU_DEP_4)
	v_add_f16_e32 v78, v126, v22
	v_add_f16_e32 v79, v127, v53
	s_delay_alu instid0(VALU_DEP_4) | instskip(NEXT) | instid1(VALU_DEP_4)
	v_add_f16_e32 v22, v115, v75
	v_add_f16_e32 v75, v116, v117
	v_and_b32_e32 v53, 0xffff, v114
	s_and_saveexec_b32 s0, vcc_lo
	s_cbranch_execz .LBB0_5
; %bb.4:
	v_mul_f16_e32 v123, 0xb08e, v109
	v_mul_f16_e64 v129, 0xbbad, v112
	v_mul_f16_e64 v132, 0xbbeb, v104
	;; [unrolled: 1-line block ×4, first 2 shown]
	v_fma_f16 v128, 0x3beb, v92, v123
	v_fma_f16 v133, 0xb482, v93, v129
	v_fma_f16 v136, 0xb08e, v87, v132
	v_mul_f16_e64 v138, 0x3abb, v113
	v_fma_f16 v139, 0xbbad, v89, v137
	v_add_f16_e64 v128, v27, v128
	v_mul_f16_e64 v140, 0x3b47, v108
	v_add_f16_e64 v136, v11, v136
	v_mul_f16_e64 v141, 0xb93d, v106
	v_mul_f16_e64 v142, 0xb853, v111
	v_add_f16_e64 v128, v133, v128
	v_fma_f16 v133, 0xbb47, v97, v134
	v_add_f16_e64 v136, v139, v136
	v_fma_f16 v139, 0x36a6, v90, v140
	v_mul_f16_e64 v143, 0xb93d, v109
	v_mul_f16_e64 v144, 0xba0c, v107
	v_add_f16_e64 v128, v133, v128
	v_fma_f16 v133, 0x3853, v101, v138
	v_add_f16_e64 v136, v139, v136
	v_fma_f16 v139, 0x3abb, v91, v142
	v_mul_f16_e64 v145, 0xb08e, v112
	v_mul_f16_e64 v146, 0xba0c, v104
	v_add_f16_e64 v128, v133, v128
	v_fma_f16 v133, 0x3a0c, v99, v141
	v_add_f16_e64 v136, v139, v136
	v_fma_f16 v139, 0xb93d, v85, v144
	v_fma_f16 v147, 0xbbeb, v93, v145
	v_mul_f16_e64 v148, 0x3abb, v110
	v_add_f16_e64 v128, v133, v128
	v_fma_f16 v133, 0x3a0c, v92, v143
	v_add_f16_e64 v136, v139, v136
	v_fma_f16 v139, 0xb93d, v87, v146
	v_mul_f16_e64 v149, 0x3beb, v105
	v_mul_f16_e64 v150, 0xbbad, v113
	v_add_f16_e64 v133, v27, v133
	v_mul_f16_e64 v152, 0xb853, v108
	v_add_f16_e64 v139, v11, v139
	v_fma_f16 v151, 0xb08e, v89, v149
	v_mul_f16_e64 v153, 0x36a6, v106
	v_add_f16_e64 v133, v147, v133
	v_fma_f16 v147, 0x3853, v97, v148
	;; [unrolled: 3-line block ×3, first 2 shown]
	v_mul_f16_e32 v115, 0x3abb, v109
	v_add_f16_e64 v133, v147, v133
	v_fma_f16 v147, 0x3482, v101, v150
	v_mul_f16_e32 v117, 0x36a6, v109
	v_mul_f16_e32 v109, 0xbbad, v109
	v_add_f16_e64 v139, v151, v139
	v_fma_f16 v151, 0xbbad, v91, v154
	v_add_f16_e64 v133, v147, v133
	v_fma_f16 v147, 0xbb47, v99, v153
	v_mul_f16_e64 v155, 0x3b47, v107
	v_mul_f16_e32 v119, 0x36a6, v112
	v_mul_f16_e32 v121, 0xb93d, v112
	;; [unrolled: 1-line block ×3, first 2 shown]
	v_add_f16_e64 v133, v147, v133
	v_fma_f16 v147, 0x3482, v92, v109
	v_add_f16_e64 v139, v151, v139
	v_fma_f16 v151, 0x36a6, v85, v155
	v_mul_f16_e32 v104, 0xb482, v104
	v_fmac_f16_e32 v109, 0xb482, v92
	v_mul_f16_e32 v124, 0xb08e, v110
	v_mul_f16_e32 v126, 0xbbad, v110
	v_add_f16_e64 v147, v27, v147
	v_fma_f16 v156, 0xb853, v93, v112
	v_mul_f16_e32 v110, 0xb93d, v110
	v_add_f16_e64 v139, v151, v139
	v_fma_f16 v151, 0xbbad, v87, v104
	v_mul_f16_e32 v105, 0x3853, v105
	v_add_f16_e32 v109, v27, v109
	v_fmac_f16_e32 v112, 0x3853, v93
	v_fma_f16 v104, v87, 0xbbad, -v104
	v_mul_f16_e64 v130, 0xb93d, v113
	v_mul_f16_e64 v135, 0xb08e, v113
	v_add_f16_e64 v147, v156, v147
	v_fma_f16 v156, 0x3a0c, v97, v110
	v_mul_f16_e32 v113, 0x36a6, v113
	v_fma_f16 v157, 0x3abb, v89, v105
	v_mul_f16_e32 v108, 0xba0c, v108
	v_add_f16_e32 v109, v112, v109
	v_fmac_f16_e32 v110, 0xba0c, v97
	v_add_f16_e32 v104, v11, v104
	v_fma_f16 v105, v89, 0x3abb, -v105
	v_add_f16_e64 v151, v11, v151
	v_add_f16_e64 v147, v156, v147
	v_fma_f16 v156, 0xbb47, v101, v113
	v_mul_f16_e32 v111, 0x3b47, v111
	v_add_f16_e32 v109, v110, v109
	v_fmac_f16_e32 v113, 0x3b47, v101
	v_fmac_f16_e64 v143, 0xba0c, v92
	v_add_f16_e32 v104, v105, v104
	v_fma_f16 v105, v90, 0xb93d, -v108
	v_add_f16_e64 v151, v157, v151
	v_fma_f16 v157, 0xb93d, v90, v108
	v_add_f16_e32 v108, v113, v109
	v_add_f16_e64 v109, v27, v143
	v_fmac_f16_e64 v145, 0x3beb, v93
	v_add_f16_e32 v104, v105, v104
	v_fma_f16 v105, v91, 0x36a6, -v111
	v_fmac_f16_e64 v148, 0xb853, v97
	v_fmac_f16_e32 v123, 0xbbeb, v92
	v_add_f16_e64 v109, v145, v109
	v_fmac_f16_e64 v129, 0x3482, v93
	v_add_f16_e32 v104, v105, v104
	v_fma_f16 v105, v87, 0xb93d, -v146
	v_mul_f16_e32 v114, 0x3abb, v87
	v_add_f16_e64 v92, v148, v109
	v_fma_f16 v109, v89, 0xb08e, -v149
	v_mul_f16_e32 v116, 0x36a6, v87
	v_add_f16_e32 v105, v11, v105
	v_fmac_f16_e64 v134, 0x3b47, v97
	v_fma_f16 v87, v87, 0xb08e, -v132
	v_fma_f16 v97, v91, 0xbbad, -v154
	v_mul_f16_e32 v118, 0x36a6, v89
	v_add_f16_e32 v93, v109, v105
	v_fma_f16 v105, v90, 0x3abb, -v152
	v_mul_f16_e32 v120, 0xb93d, v89
	v_add_f16_e32 v87, v11, v87
	;; [unrolled: 3-line block ×3, first 2 shown]
	v_mul_f16_e32 v125, 0xbbad, v90
	v_sub_f16_e32 v96, v116, v96
	v_add_f16_e32 v87, v89, v87
	v_fma_f16 v89, v90, 0x36a6, -v140
	v_add_f16_e32 v93, v97, v93
	v_add_f16_e32 v97, v103, v117
	;; [unrolled: 1-line block ×4, first 2 shown]
	v_mul_f16_e32 v127, 0xb93d, v91
	v_mul_f16_e64 v131, 0xb08e, v91
	v_add_f16_e32 v90, v27, v97
	v_add_f16_e32 v97, v102, v121
	v_add_f16_e64 v151, v157, v151
	v_fma_f16 v157, 0x36a6, v91, v111
	v_add_f16_e32 v87, v89, v87
	v_fma_f16 v89, v91, 0x3abb, -v142
	v_add_f16_e32 v90, v97, v90
	v_add_f16_e32 v91, v100, v126
	;; [unrolled: 1-line block ×3, first 2 shown]
	v_sub_f16_e32 v94, v120, v94
	v_add_f16_e32 v72, v73, v72
	v_add_f16_e32 v68, v69, v68
	;; [unrolled: 1-line block ×5, first 2 shown]
	v_sub_f16_e32 v88, v125, v88
	v_add_f16_e32 v71, v72, v71
	v_add_f16_e32 v67, v68, v67
	v_sub_f16_e64 v69, v131, v86
	v_add_f16_e32 v72, v84, v115
	v_add_f16_e32 v73, v88, v91
	;; [unrolled: 1-line block ×7, first 2 shown]
	v_sub_f16_e32 v69, v114, v82
	v_add_f16_e32 v67, v83, v119
	v_add_f16_e32 v18, v70, v18
	;; [unrolled: 1-line block ×3, first 2 shown]
	v_mul_f16_e64 v158, 0xb08e, v106
	v_add_f16_e32 v11, v11, v69
	v_sub_f16_e32 v69, v118, v80
	v_add_f16_e32 v27, v67, v27
	v_add_f16_e32 v66, v81, v124
	;; [unrolled: 1-line block ×4, first 2 shown]
	v_add_f16_e64 v147, v156, v147
	v_fma_f16 v156, 0x3beb, v99, v158
	v_add_f16_e32 v11, v69, v11
	v_sub_f16_e32 v30, v122, v76
	v_add_f16_e32 v27, v66, v27
	v_add_f16_e32 v15, v17, v15
	v_add_f16_e64 v17, v77, v130
	v_add_f16_e32 v18, v18, v29
	v_add_f16_e64 v147, v156, v147
	v_mul_f16_e64 v156, 0xbbad, v85
	v_add_f16_e64 v151, v157, v151
	v_mul_f16_e64 v157, 0xbbad, v106
	v_add_f16_e64 v109, v129, v111
	v_add_f16_e32 v11, v30, v11
	v_sub_f16_e32 v20, v127, v20
	v_add_f16_e32 v14, v15, v14
	v_add_f16_e32 v15, v17, v27
	v_add_f16_e32 v17, v18, v28
	v_mul_f16_e32 v112, 0x3abb, v85
	v_mul_f16_e32 v106, 0x3abb, v106
	v_mul_f16_e32 v107, 0xbbeb, v107
	v_add_f16_e64 v105, v134, v109
	v_fmac_f16_e64 v138, 0xb853, v101
	v_add_f16_e64 v90, v98, v135
	v_add_f16_e64 v18, v74, v157
	v_add_f16_e32 v11, v20, v11
	v_add_f16_e32 v13, v14, v13
	v_mul_u32_u24_e32 v14, 0x63, v53
	v_add_f16_e32 v17, v17, v26
	v_sub_f16_e64 v16, v156, v16
	v_fmac_f16_e64 v150, 0xb482, v101
	v_fmamk_f16 v110, v85, 0xb08e, v107
	v_fma_f16 v107, v85, 0xb08e, -v107
	v_fma_f16 v101, v85, 0x36a6, -v155
	v_add_f16_e64 v103, v138, v105
	v_fmac_f16_e64 v141, 0xba0c, v99
	v_fma_f16 v85, v85, 0xb93d, -v144
	v_add_f16_e32 v89, v90, v89
	v_add_f16_e32 v86, v95, v106
	;; [unrolled: 1-line block ×4, first 2 shown]
	v_add_nc_u32_e32 v13, v14, v52
	v_add_f16_e32 v14, v17, v25
	v_add_f16_e32 v11, v16, v11
	v_sub_f16_e32 v16, v112, v19
	v_fmac_f16_e64 v158, 0xbbeb, v99
	v_add_f16_e64 v92, v150, v92
	v_fmac_f16_e64 v153, 0x3b47, v99
	v_add_f16_e64 v97, v141, v103
	v_add_f16_e32 v17, v86, v89
	v_lshl_add_u32 v13, v13, 2, v51
	v_pack_b32_f16 v12, v12, v14
	v_pack_b32_f16 v11, v11, v15
	v_add_f16_e32 v14, v16, v68
	v_add_f16_e32 v15, v85, v87
	v_add_f16_e64 v108, v158, v108
	v_add_f16_e64 v92, v153, v92
	v_add_f16_e32 v16, v101, v93
	v_add_f16_e32 v18, v107, v104
	v_add_f16_e64 v110, v110, v151
	ds_store_2addr_b32 v13, v12, v11 offset1:9
	v_pack_b32_f16 v11, v14, v17
	v_pack_b32_f16 v12, v15, v97
	;; [unrolled: 1-line block ×7, first 2 shown]
	v_perm_b32 v19, v75, v22, 0x5040100
	v_perm_b32 v20, v79, v78, 0x5040100
	ds_store_2addr_b32 v13, v11, v12 offset0:18 offset1:27
	ds_store_2addr_b32 v13, v14, v15 offset0:36 offset1:45
	;; [unrolled: 1-line block ×4, first 2 shown]
	ds_store_b32 v13, v20 offset:360
.LBB0_5:
	s_wait_alu 0xfffe
	s_or_b32 exec_lo, exec_lo, s0
	v_add_co_u32 v29, null, 0xc6, v43
	v_lshlrev_b32_e32 v28, 3, v43
	global_wb scope:SCOPE_SE
	s_wait_dscnt 0x0
	s_barrier_signal -1
	v_and_b32_e32 v13, 0xffff, v29
	s_barrier_wait -1
	global_inv scope:SCOPE_SE
	global_load_b64 v[11:12], v28, s[10:11] offset:360
	v_add_nc_u32_e32 v25, 0x200, v34
	v_mul_u32_u24_e32 v13, 0xa57f, v13
	v_add_nc_u32_e32 v80, 0x800, v34
	v_add_nc_u32_e32 v81, 0x400, v34
	ds_load_2addr_b32 v[15:16], v34 offset1:99
	v_add_nc_u32_e32 v67, 0x318, v28
	v_lshrrev_b32_e32 v13, 22, v13
	s_delay_alu instid0(VALU_DEP_1) | instskip(NEXT) | instid1(VALU_DEP_1)
	v_mul_lo_u16 v13, 0x63, v13
	v_sub_nc_u16 v30, v29, v13
	v_lshlrev_b32_e32 v29, 3, v29
	s_delay_alu instid0(VALU_DEP_2)
	v_lshlrev_b16 v13, 3, v30
	v_and_b32_e32 v30, 0xffff, v30
	s_wait_dscnt 0x0
	v_lshrrev_b32_e32 v70, 16, v15
	v_lshrrev_b32_e32 v71, 16, v16
	v_and_b32_e32 v13, 0xffff, v13
	v_lshl_add_u32 v65, v30, 2, v51
	s_delay_alu instid0(VALU_DEP_2) | instskip(SKIP_2) | instid1(VALU_DEP_3)
	v_add_co_u32 v13, s0, s10, v13
	s_wait_alu 0xf1ff
	v_add_co_ci_u32_e64 v14, null, s11, 0, s0
	v_add_nc_u32_e32 v84, 0x800, v65
	s_add_nc_u64 s[0:1], s[8:9], 0xdec
	global_load_b64 v[13:14], v[13:14], off offset:360
	ds_load_b32 v66, v34 offset:3168
	ds_load_2addr_b32 v[17:18], v25 offset0:70 offset1:169
	ds_load_2addr_b32 v[19:20], v80 offset0:82 offset1:181
	;; [unrolled: 1-line block ×3, first 2 shown]
	global_wb scope:SCOPE_SE
	s_wait_loadcnt_dscnt 0x0
	s_barrier_signal -1
	s_barrier_wait -1
	global_inv scope:SCOPE_SE
	v_lshrrev_b32_e32 v72, 16, v66
	v_lshrrev_b32_e32 v73, 16, v18
	;; [unrolled: 1-line block ×9, first 2 shown]
	s_delay_alu instid0(VALU_DEP_2) | instskip(SKIP_1) | instid1(VALU_DEP_3)
	v_mul_f16_e32 v77, v73, v68
	v_mul_f16_e32 v85, v18, v68
	;; [unrolled: 1-line block ×8, first 2 shown]
	v_fma_f16 v18, v18, v11, -v77
	v_fmac_f16_e32 v85, v73, v11
	v_fma_f16 v19, v19, v12, -v86
	v_fmac_f16_e32 v87, v74, v12
	;; [unrolled: 2-line block ×4, first 2 shown]
	v_add_f16_e32 v30, v15, v18
	v_add_f16_e32 v73, v18, v19
	;; [unrolled: 1-line block ×5, first 2 shown]
	v_sub_f16_e32 v88, v89, v91
	v_add_f16_e32 v90, v71, v89
	v_add_f16_e32 v89, v89, v91
	v_sub_f16_e32 v74, v85, v87
	v_sub_f16_e32 v18, v18, v19
	v_add_f16_e32 v85, v16, v26
	v_sub_f16_e32 v26, v26, v20
	v_add_f16_e32 v19, v30, v19
	v_fma_f16 v15, -0.5, v73, v15
	v_add_f16_e32 v30, v76, v87
	v_fmac_f16_e32 v70, -0.5, v77
	v_fmac_f16_e32 v16, -0.5, v86
	;; [unrolled: 1-line block ×3, first 2 shown]
	v_lshrrev_b32_e32 v77, 16, v13
	v_lshrrev_b32_e32 v76, 16, v14
	v_add_f16_e32 v20, v85, v20
	v_fmamk_f16 v85, v74, 0x3aee, v15
	v_fmac_f16_e32 v15, 0xbaee, v74
	v_fmamk_f16 v74, v18, 0xbaee, v70
	v_fmac_f16_e32 v70, 0x3aee, v18
	;; [unrolled: 2-line block ×4, first 2 shown]
	v_pack_b32_f16 v19, v19, v30
	v_mul_f16_e32 v26, v83, v77
	v_mul_f16_e32 v30, v72, v76
	;; [unrolled: 1-line block ×4, first 2 shown]
	v_add_f16_e32 v73, v90, v91
	v_fma_f16 v26, v27, v13, -v26
	v_fma_f16 v27, v66, v14, -v30
	v_fmac_f16_e32 v87, v83, v13
	v_fmac_f16_e32 v88, v72, v14
	v_pack_b32_f16 v20, v20, v73
	v_pack_b32_f16 v30, v85, v74
	v_add_f16_e32 v66, v26, v27
	v_pack_b32_f16 v15, v15, v70
	v_add_f16_e32 v72, v87, v88
	v_add_f16_e32 v70, v17, v26
	v_sub_f16_e32 v73, v87, v88
	v_add_f16_e32 v74, v82, v87
	v_fmac_f16_e32 v17, -0.5, v66
	v_sub_f16_e32 v26, v26, v27
	v_fmac_f16_e32 v82, -0.5, v72
	v_add_f16_e32 v27, v70, v27
	v_add_f16_e32 v66, v74, v88
	v_fmamk_f16 v70, v73, 0x3aee, v17
	v_fmac_f16_e32 v17, 0xbaee, v73
	v_fmamk_f16 v72, v26, 0xbaee, v82
	v_fmac_f16_e32 v82, 0x3aee, v26
	v_pack_b32_f16 v18, v18, v86
	v_pack_b32_f16 v16, v16, v71
	;; [unrolled: 1-line block ×5, first 2 shown]
	ds_store_2addr_b32 v34, v19, v30 offset1:99
	ds_store_2addr_b32 v25, v15, v20 offset0:70 offset1:169
	ds_store_2addr_b32 v81, v18, v16 offset0:140 offset1:239
	;; [unrolled: 1-line block ×3, first 2 shown]
	ds_store_b32 v65, v17 offset:3168
	global_wb scope:SCOPE_SE
	s_wait_dscnt 0x0
	s_barrier_signal -1
	s_barrier_wait -1
	global_inv scope:SCOPE_SE
	s_clause 0x2
	global_load_b64 v[19:20], v28, s[10:11] offset:1152
	global_load_b64 v[17:18], v67, s[10:11] offset:1152
	;; [unrolled: 1-line block ×3, first 2 shown]
	ds_load_2addr_b32 v[26:27], v34 offset1:99
	ds_load_2addr_b32 v[28:29], v25 offset0:70 offset1:169
	ds_load_2addr_b32 v[82:83], v80 offset0:82 offset1:181
	;; [unrolled: 1-line block ×3, first 2 shown]
	ds_load_b32 v30, v34 offset:3168
	v_lshl_add_u32 v66, v43, 2, v51
	s_wait_dscnt 0x4
	v_lshrrev_b32_e32 v86, 16, v26
	s_wait_dscnt 0x3
	v_lshrrev_b32_e32 v87, 16, v29
	;; [unrolled: 2-line block ×4, first 2 shown]
	v_lshrrev_b32_e32 v91, 16, v83
	v_lshrrev_b32_e32 v93, 16, v85
	s_wait_dscnt 0x0
	v_lshrrev_b32_e32 v94, 16, v30
	v_lshrrev_b32_e32 v92, 16, v28
	;; [unrolled: 1-line block ×3, first 2 shown]
	s_wait_loadcnt 0x2
	v_lshrrev_b32_e32 v74, 16, v19
	v_lshrrev_b32_e32 v73, 16, v20
	s_wait_loadcnt 0x1
	v_lshrrev_b32_e32 v72, 16, v17
	v_lshrrev_b32_e32 v71, 16, v18
	;; [unrolled: 3-line block ×3, first 2 shown]
	v_mul_f16_e32 v95, v87, v74
	v_mul_f16_e32 v96, v29, v74
	;; [unrolled: 1-line block ×12, first 2 shown]
	v_fma_f16 v29, v29, v19, -v95
	v_fmac_f16_e32 v96, v87, v19
	v_fma_f16 v82, v82, v20, -v97
	v_fmac_f16_e32 v98, v88, v20
	;; [unrolled: 2-line block ×6, first 2 shown]
	v_add_f16_e32 v88, v29, v82
	v_add_f16_e32 v93, v96, v98
	;; [unrolled: 1-line block ×5, first 2 shown]
	v_sub_f16_e32 v103, v104, v106
	v_add_f16_e32 v105, v92, v104
	v_add_f16_e32 v104, v104, v106
	;; [unrolled: 1-line block ×3, first 2 shown]
	v_sub_f16_e32 v90, v96, v98
	v_add_f16_e32 v91, v86, v96
	v_sub_f16_e32 v29, v29, v82
	v_fma_f16 v26, -0.5, v88, v26
	v_fmac_f16_e32 v86, -0.5, v93
	v_add_f16_e32 v94, v27, v84
	v_add_f16_e32 v97, v89, v100
	v_sub_f16_e32 v96, v100, v102
	v_sub_f16_e32 v84, v84, v83
	v_fmac_f16_e32 v27, -0.5, v95
	v_fmac_f16_e32 v89, -0.5, v99
	v_add_f16_e32 v100, v28, v85
	v_sub_f16_e32 v85, v85, v30
	v_fmac_f16_e32 v28, -0.5, v101
	v_fmac_f16_e32 v92, -0.5, v104
	v_fmamk_f16 v93, v90, 0x3aee, v26
	v_fmac_f16_e32 v26, 0xbaee, v90
	v_fmamk_f16 v90, v29, 0xbaee, v86
	v_fmac_f16_e32 v86, 0x3aee, v29
	v_add_f16_e32 v82, v87, v82
	v_add_f16_e32 v87, v91, v98
	;; [unrolled: 1-line block ×4, first 2 shown]
	v_fmamk_f16 v29, v96, 0x3aee, v27
	v_fmamk_f16 v94, v84, 0xbaee, v89
	v_add_f16_e32 v30, v100, v30
	v_add_f16_e32 v91, v105, v106
	v_fmac_f16_e32 v27, 0xbaee, v96
	v_fmac_f16_e32 v89, 0x3aee, v84
	v_fmamk_f16 v84, v103, 0x3aee, v28
	v_fmamk_f16 v95, v85, 0xbaee, v92
	v_fmac_f16_e32 v28, 0xbaee, v103
	v_fmac_f16_e32 v92, 0x3aee, v85
	v_pack_b32_f16 v85, v93, v90
	v_pack_b32_f16 v26, v26, v86
	;; [unrolled: 1-line block ×9, first 2 shown]
	ds_store_b32 v34, v85 offset:1188
	ds_store_b32 v34, v26 offset:2376
	ds_store_2addr_b32 v34, v82, v83 offset1:99
	ds_store_b32 v66, v29 offset:1584
	ds_store_b32 v66, v27 offset:2772
	;; [unrolled: 1-line block ×5, first 2 shown]
	global_wb scope:SCOPE_SE
	s_wait_dscnt 0x0
	s_barrier_signal -1
	s_barrier_wait -1
	global_inv scope:SCOPE_SE
	s_clause 0x8
	global_load_b32 v30, v[23:24], off offset:3564
	global_load_b32 v84, v21, s[0:1] offset:396
	global_load_b32 v85, v21, s[0:1] offset:792
	;; [unrolled: 1-line block ×8, first 2 shown]
	ds_load_2addr_b32 v[23:24], v34 offset1:99
	ds_load_2addr_b32 v[26:27], v25 offset0:70 offset1:169
	ds_load_2addr_b32 v[28:29], v81 offset0:140 offset1:239
	;; [unrolled: 1-line block ×3, first 2 shown]
	ds_load_b32 v91, v34 offset:3168
	s_wait_dscnt 0x4
	v_lshrrev_b32_e32 v92, 16, v23
	v_lshrrev_b32_e32 v93, 16, v24
	s_wait_dscnt 0x3
	v_lshrrev_b32_e32 v94, 16, v26
	v_lshrrev_b32_e32 v95, 16, v27
	;; [unrolled: 3-line block ×4, first 2 shown]
	s_wait_dscnt 0x0
	v_lshrrev_b32_e32 v100, 16, v91
	s_wait_loadcnt 0x8
	v_lshrrev_b32_e32 v101, 16, v30
	s_wait_loadcnt 0x7
	;; [unrolled: 2-line block ×9, first 2 shown]
	v_lshrrev_b32_e32 v109, 16, v21
	v_mul_f16_e32 v110, v92, v101
	v_mul_f16_e32 v101, v23, v101
	;; [unrolled: 1-line block ×18, first 2 shown]
	v_fma_f16 v23, v23, v30, -v110
	v_fmac_f16_e32 v101, v92, v30
	v_fma_f16 v24, v24, v84, -v111
	v_fmac_f16_e32 v102, v93, v84
	;; [unrolled: 2-line block ×9, first 2 shown]
	v_pack_b32_f16 v21, v23, v101
	v_pack_b32_f16 v23, v24, v102
	;; [unrolled: 1-line block ×9, first 2 shown]
	ds_store_2addr_b32 v34, v21, v23 offset1:99
	ds_store_2addr_b32 v25, v24, v26 offset0:70 offset1:169
	ds_store_2addr_b32 v81, v27, v28 offset0:140 offset1:239
	;; [unrolled: 1-line block ×3, first 2 shown]
	ds_store_b32 v34, v82 offset:3168
	global_wb scope:SCOPE_SE
	s_wait_dscnt 0x0
	s_barrier_signal -1
	s_barrier_wait -1
	global_inv scope:SCOPE_SE
	ds_load_2addr_b32 v[23:24], v34 offset1:99
	ds_load_2addr_b32 v[25:26], v25 offset0:70 offset1:169
	ds_load_b32 v21, v34 offset:3168
	ds_load_2addr_b32 v[27:28], v80 offset0:82 offset1:181
	ds_load_2addr_b32 v[29:30], v81 offset0:140 offset1:239
	global_wb scope:SCOPE_SE
	s_wait_dscnt 0x0
	s_barrier_signal -1
	s_barrier_wait -1
	global_inv scope:SCOPE_SE
	v_lshrrev_b32_e32 v85, 16, v23
	v_pk_add_f16 v82, v24, v21
	v_pk_add_f16 v83, v25, v28
	;; [unrolled: 1-line block ×3, first 2 shown]
	v_pk_add_f16 v21, v24, v21 neg_lo:[0,1] neg_hi:[0,1]
	v_pk_add_f16 v24, v25, v28 neg_lo:[0,1] neg_hi:[0,1]
	;; [unrolled: 1-line block ×4, first 2 shown]
	v_pk_add_f16 v27, v29, v30
	v_pk_add_f16 v88, v83, v82
	v_lshrrev_b32_e32 v28, 16, v82
	v_mul_f16_e32 v91, 0x3924, v21
	v_pk_mul_f16 v97, 0xb924, v26 op_sel_hi:[0,1]
	v_pk_fma_f16 v98, 0x3a21, v27, v23 op_sel_hi:[0,1,1]
	v_lshrrev_b32_e32 v92, 16, v21
	v_fmamk_f16 v86, v82, 0x3a21, v23
	v_lshrrev_b32_e32 v87, 16, v83
	v_lshrrev_b32_e32 v94, 16, v26
	v_mul_f16_e32 v99, 0x3be1, v26
	v_fmamk_f16 v89, v83, 0x3a21, v23
	v_pk_add_f16 v101, v26, v21
	v_pk_add_f16 v103, v84, v88
	v_pk_fma_f16 v97, 0x3be1, v21, v97 op_sel_hi:[0,1,1]
	v_pk_fma_f16 v98, 0x318f, v82, v98 op_sel_hi:[0,1,1]
	v_pk_mul_f16 v90, 0x3aee, v25 op_sel_hi:[0,1]
	v_lshrrev_b32_e32 v93, 16, v24
	v_pk_mul_f16 v95, v84, 0.5 op_sel_hi:[1,0]
	v_fmamk_f16 v102, v28, 0x3a21, v85
	v_mul_f16_e32 v104, 0x3924, v92
	v_fmac_f16_e32 v91, 0x3be1, v24
	v_lshrrev_b32_e32 v96, 16, v27
	v_fmac_f16_e32 v86, 0x318f, v83
	v_fmac_f16_e32 v85, 0x3a21, v87
	v_mul_f16_e32 v107, 0x3be1, v94
	v_fma_f16 v99, v24, 0xb924, -v99
	v_pk_add_f16 v100, v84, v23
	v_fmac_f16_e32 v89, 0x318f, v27
	v_pk_add_f16 v101, v101, v24 neg_lo:[0,1] neg_hi:[0,1]
	v_pk_add_f16 v88, v27, v88
	v_pk_add_f16 v29, v29, v103
	v_pk_fma_f16 v25, 0x3aee, v25, v97 op_sel_hi:[0,1,1] neg_lo:[0,1,0] neg_hi:[0,1,0]
	v_pk_fma_f16 v84, v84, 0.5, v98 op_sel_hi:[1,0,1] neg_lo:[1,0,0] neg_hi:[1,0,0]
	v_lshrrev_b32_e32 v105, 16, v90
	v_lshrrev_b32_e32 v106, 16, v95
	v_fmac_f16_e32 v102, 0x318f, v87
	v_fmac_f16_e32 v104, 0x3be1, v93
	v_add_f16_e32 v87, v90, v91
	v_sub_f16_e32 v91, v86, v95
	v_fma_f16 v86, v93, 0xb924, -v107
	v_add_f16_e32 v90, v90, v99
	v_fmac_f16_e32 v85, 0x318f, v96
	v_sub_f16_e32 v93, v89, v95
	v_pk_mul_f16 v95, 0x3aee, v101 op_sel_hi:[0,1]
	v_pk_fma_f16 v88, v88, 0.5, v100 op_sel_hi:[1,0,1] neg_lo:[1,0,0] neg_hi:[1,0,0]
	v_pk_add_f16 v29, v30, v29
	v_pk_fma_f16 v98, 0x3579, v24, v25 op_sel_hi:[0,1,1]
	v_pk_fma_f16 v24, 0xbb84, v83, v84 op_sel_hi:[0,1,1]
	v_add_f16_e32 v97, v105, v104
	v_fmac_f16_e32 v87, 0x3579, v26
	v_sub_f16_e32 v26, v102, v106
	v_add_f16_e32 v99, v105, v86
	v_fmac_f16_e32 v90, 0x3579, v21
	v_sub_f16_e32 v21, v85, v106
	v_pk_add_f16 v25, v88, v95 op_sel:[0,1] op_sel_hi:[1,0]
	v_pk_add_f16 v23, v29, v23
	v_pk_add_f16 v29, v24, v98 op_sel:[0,1] op_sel_hi:[1,0] neg_lo:[0,1] neg_hi:[0,1]
	v_pk_add_f16 v83, v24, v98 op_sel:[0,1] op_sel_hi:[1,0]
	v_fmac_f16_e32 v91, 0xbb84, v27
	v_fmac_f16_e32 v97, 0x3579, v94
	;; [unrolled: 1-line block ×4, first 2 shown]
	v_pk_add_f16 v30, v88, v95 op_sel:[0,1] op_sel_hi:[1,0] neg_lo:[0,1] neg_hi:[0,1]
	v_fmac_f16_e32 v99, 0x3579, v92
	v_fmac_f16_e32 v21, 0xbb84, v28
	v_lshrrev_b32_e32 v85, 16, v98
	v_lshrrev_b32_e32 v86, 16, v25
	v_mov_b32_e32 v28, v29
	v_lshrrev_b32_e32 v88, 16, v83
	v_sub_f16_e32 v24, v91, v97
	v_add_f16_e32 v89, v87, v26
	v_lshrrev_b32_e32 v82, 16, v95
	v_bfi_b32 v92, 0xffff, v30, v25
	v_mov_b32_e32 v27, v30
	v_sub_f16_e32 v25, v93, v99
	v_add_f16_e32 v84, v90, v21
	v_bfi_b32 v91, 0xffff, v29, v83
	v_mov_b32_e32 v83, v86
	v_fmac_f16_e32 v28, 2.0, v85
	v_mov_b32_e32 v85, v88
	v_fma_f16 v21, 2.0, v97, v24
	v_fma_f16 v87, -2.0, v87, v89
	v_fmac_f16_e32 v27, 2.0, v82
	v_fma_f16 v26, 2.0, v99, v25
	v_fma_f16 v82, -2.0, v90, v84
	v_fmac_f16_e32 v83, -2.0, v95
	v_fmac_f16_e32 v85, -2.0, v98
	v_pack_b32_f16 v93, v21, v87
	v_pack_b32_f16 v90, v24, v89
	;; [unrolled: 1-line block ×6, first 2 shown]
	ds_store_b32 v54, v93 offset:32
	ds_store_2addr_b32 v54, v23, v90 offset1:1
	ds_store_2addr_b32 v54, v91, v92 offset0:2 offset1:3
	ds_store_2addr_b32 v54, v94, v95 offset0:4 offset1:5
	;; [unrolled: 1-line block ×3, first 2 shown]
	global_wb scope:SCOPE_SE
	s_wait_dscnt 0x0
	s_barrier_signal -1
	s_barrier_wait -1
	global_inv scope:SCOPE_SE
	s_and_saveexec_b32 s0, vcc_lo
	s_cbranch_execz .LBB0_7
; %bb.6:
	v_add_nc_u32_e32 v27, 0x600, v34
	ds_load_2addr_b32 v[23:24], v34 offset1:81
	ds_load_2addr_b32 v[29:30], v34 offset0:162 offset1:243
	ds_load_2addr_b32 v[25:26], v81 offset0:68 offset1:149
	;; [unrolled: 1-line block ×4, first 2 shown]
	ds_load_b32 v78, v34 offset:3240
	s_wait_dscnt 0x5
	v_lshrrev_b32_e32 v89, 16, v24
	s_wait_dscnt 0x4
	v_lshrrev_b32_e32 v88, 16, v29
	v_lshrrev_b32_e32 v86, 16, v30
	s_wait_dscnt 0x3
	v_lshrrev_b32_e32 v84, 16, v25
	;; [unrolled: 3-line block ×5, first 2 shown]
.LBB0_7:
	s_wait_alu 0xfffe
	s_or_b32 exec_lo, exec_lo, s0
	v_add_nc_u32_e32 v54, 0x318, v34
	global_wb scope:SCOPE_SE
	s_barrier_signal -1
	s_barrier_wait -1
	global_inv scope:SCOPE_SE
	s_and_saveexec_b32 s0, vcc_lo
	s_cbranch_execz .LBB0_9
; %bb.8:
	v_mul_f16_e32 v81, v63, v89
	v_mul_f16_e32 v80, v64, v79
	;; [unrolled: 1-line block ×4, first 2 shown]
	s_delay_alu instid0(VALU_DEP_4) | instskip(NEXT) | instid1(VALU_DEP_4)
	v_fmac_f16_e32 v81, v4, v24
	v_fmac_f16_e32 v80, v10, v78
	v_mul_f16_e32 v78, v61, v88
	v_fma_f16 v63, v10, v79, -v64
	v_mul_f16_e32 v79, v62, v75
	v_fma_f16 v64, v4, v89, -v90
	v_sub_f16_e32 v4, v81, v80
	v_mul_f16_e32 v62, v62, v22
	v_fmac_f16_e32 v78, v5, v29
	v_fmac_f16_e32 v79, v9, v22
	v_mul_f16_e32 v22, v61, v29
	v_add_f16_e32 v89, v63, v64
	v_mul_f16_e32 v90, 0xbbeb, v4
	v_mul_f16_e32 v29, v59, v86
	;; [unrolled: 1-line block ×3, first 2 shown]
	v_sub_f16_e32 v10, v78, v79
	v_fma_f16 v9, v9, v75, -v62
	v_fma_f16 v5, v5, v88, -v22
	v_lshrrev_b32_e32 v24, 16, v23
	v_fmamk_f16 v91, v89, 0xb08e, v90
	v_fmac_f16_e32 v29, v6, v30
	v_fmac_f16_e32 v61, v3, v21
	v_mul_f16_e32 v21, v60, v21
	v_mul_f16_e32 v22, v59, v30
	;; [unrolled: 1-line block ×3, first 2 shown]
	v_add_f16_e32 v59, v9, v5
	v_sub_f16_e32 v60, v29, v61
	v_fma_f16 v3, v3, v87, -v21
	v_fma_f16 v6, v6, v86, -v22
	v_add_f16_e32 v21, v24, v91
	v_fmamk_f16 v22, v59, 0xbbad, v30
	v_mul_f16_e32 v62, 0x3b47, v60
	v_mul_f16_e32 v86, v58, v85
	v_add_f16_e32 v75, v3, v6
	v_sub_f16_e32 v92, v5, v9
	v_add_f16_e32 v21, v22, v21
	v_mul_f16_e32 v22, v57, v84
	v_fmac_f16_e32 v86, v2, v28
	v_fmamk_f16 v87, v75, 0x36a6, v62
	v_mul_f16_e32 v28, v58, v28
	v_mul_f16_e32 v93, 0x3482, v92
	v_fmac_f16_e32 v22, v7, v25
	v_mul_f16_e32 v25, v57, v25
	v_add_f16_e32 v21, v87, v21
	v_mul_f16_e32 v87, v56, v83
	v_mul_f16_e32 v57, v55, v82
	v_fma_f16 v2, v2, v85, -v28
	v_fma_f16 v7, v7, v84, -v25
	v_sub_f16_e32 v25, v64, v63
	v_fmac_f16_e32 v87, v1, v27
	v_add_f16_e32 v85, v80, v81
	v_mul_f16_e32 v27, v56, v27
	v_fmac_f16_e32 v57, v0, v26
	v_mul_f16_e32 v88, 0xbbeb, v25
	v_mul_f16_e32 v26, v55, v26
	v_add_f16_e32 v56, v79, v78
	v_fma_f16 v1, v1, v83, -v27
	v_sub_f16_e32 v27, v6, v3
	v_fma_f16 v55, v85, 0xb08e, -v88
	v_sub_f16_e32 v58, v22, v86
	v_fma_f16 v0, v0, v82, -v26
	v_add_f16_e32 v82, v61, v29
	v_mul_f16_e32 v83, 0x3b47, v27
	v_add_f16_e32 v26, v23, v55
	v_fma_f16 v55, v56, 0xbbad, -v93
	v_sub_f16_e32 v98, v7, v2
	v_mul_f16_e32 v28, 0xb853, v58
	v_add_f16_e32 v84, v2, v7
	v_sub_f16_e32 v91, v57, v87
	v_add_f16_e32 v26, v55, v26
	v_fma_f16 v55, v82, 0x36a6, -v83
	v_mul_f16_e32 v97, 0xba0c, v4
	v_add_f16_e32 v100, v86, v22
	v_mul_f16_e32 v101, 0xb853, v98
	v_sub_f16_e32 v102, v0, v1
	v_fmamk_f16 v94, v84, 0x3abb, v28
	v_mul_f16_e32 v95, 0xba0c, v91
	v_add_f16_e32 v96, v1, v0
	v_add_f16_e32 v26, v55, v26
	v_fmamk_f16 v55, v89, 0xb93d, v97
	v_mul_f16_e32 v99, 0x3beb, v10
	v_fma_f16 v105, v100, 0x3abb, -v101
	v_add_f16_e32 v106, v87, v57
	v_mul_f16_e32 v107, 0xba0c, v102
	v_add_f16_e32 v21, v94, v21
	v_fmamk_f16 v94, v96, 0xb93d, v95
	v_add_f16_e32 v55, v24, v55
	v_fmamk_f16 v103, v59, 0xb08e, v99
	v_mul_f16_e32 v104, 0xb853, v60
	v_add_f16_e32 v26, v105, v26
	v_fma_f16 v105, v106, 0xb93d, -v107
	v_mul_f16_e32 v109, 0xba0c, v25
	v_fmac_f16_e32 v88, 0xb08e, v85
	v_add_f16_e32 v55, v103, v55
	v_fmamk_f16 v103, v75, 0x3abb, v104
	v_mul_f16_e32 v108, 0xb482, v58
	v_add_f16_e32 v21, v94, v21
	v_add_f16_e32 v26, v105, v26
	v_fma_f16 v94, v85, 0xb93d, -v109
	v_mul_f16_e32 v105, 0x3beb, v92
	v_fma_f16 v97, v89, 0xb93d, -v97
	v_fmac_f16_e32 v109, 0xb93d, v85
	v_add_f16_e32 v88, v23, v88
	v_fmac_f16_e32 v93, 0xbbad, v56
	v_add_f16_e32 v55, v103, v55
	v_fmamk_f16 v103, v84, 0xbbad, v108
	v_add_f16_e32 v94, v23, v94
	v_fma_f16 v111, v56, 0xb08e, -v105
	v_mul_f16_e32 v112, 0xb853, v27
	v_add_f16_e32 v97, v24, v97
	v_fma_f16 v99, v59, 0xb08e, -v99
	v_add_f16_e32 v109, v23, v109
	v_fmac_f16_e32 v105, 0xb08e, v56
	v_add_f16_e32 v88, v93, v88
	v_fmac_f16_e32 v83, 0x36a6, v82
	v_add_f16_e32 v81, v23, v81
	v_add_f16_e32 v55, v103, v55
	v_mul_f16_e32 v103, 0x3b47, v91
	v_add_f16_e32 v94, v111, v94
	v_fma_f16 v111, v82, 0x3abb, -v112
	v_mul_f16_e32 v116, 0xb482, v98
	v_add_f16_e32 v97, v99, v97
	v_fma_f16 v99, v75, 0x3abb, -v104
	v_add_f16_e32 v105, v105, v109
	v_fmac_f16_e32 v112, 0x3abb, v82
	v_add_f16_e32 v83, v83, v88
	v_fmac_f16_e32 v101, 0x3abb, v100
	v_add_f16_e32 v64, v64, v24
	v_add_f16_e32 v78, v78, v81
	v_fmamk_f16 v113, v96, 0x36a6, v103
	v_add_f16_e32 v94, v111, v94
	v_fma_f16 v111, v100, 0xbbad, -v116
	v_mul_f16_e32 v121, 0xb482, v25
	v_add_f16_e32 v97, v99, v97
	v_fma_f16 v99, v84, 0xbbad, -v108
	v_add_f16_e32 v105, v112, v105
	v_fmac_f16_e32 v116, 0xbbad, v100
	v_add_f16_e32 v83, v101, v83
	v_mul_f16_e32 v101, 0xbb47, v25
	v_mul_f16_e32 v25, 0xb853, v25
	v_add_f16_e32 v5, v5, v64
	v_add_f16_e32 v29, v29, v78
	v_mul_f16_e32 v110, 0xb482, v4
	v_fma_f16 v90, v89, 0xb08e, -v90
	v_add_f16_e32 v55, v113, v55
	v_mul_f16_e32 v113, 0x3853, v92
	v_add_f16_e32 v97, v99, v97
	v_fma_f16 v99, v96, 0x36a6, -v103
	v_add_f16_e32 v103, v116, v105
	v_mul_f16_e32 v105, 0xba0c, v92
	v_fmamk_f16 v81, v85, 0x3abb, v25
	v_mul_f16_e32 v92, 0xbb47, v92
	v_add_f16_e32 v5, v6, v5
	v_add_f16_e32 v22, v22, v29
	v_fmamk_f16 v114, v89, 0xbbad, v110
	v_mul_f16_e32 v115, 0x3853, v10
	v_mul_f16_e32 v119, 0x3b47, v102
	v_add_f16_e32 v90, v24, v90
	v_fma_f16 v30, v59, 0xbbad, -v30
	v_add_f16_e32 v78, v23, v81
	v_fmamk_f16 v81, v56, 0x36a6, v92
	v_add_f16_e32 v5, v7, v5
	v_mul_f16_e32 v7, 0xbbeb, v27
	v_add_f16_e32 v22, v57, v22
	v_add_f16_e32 v114, v24, v114
	v_fmamk_f16 v117, v59, 0x3abb, v115
	v_mul_f16_e32 v118, 0xba0c, v60
	v_add_f16_e32 v94, v111, v94
	v_fma_f16 v111, v106, 0x36a6, -v119
	v_fma_f16 v110, v89, 0xbbad, -v110
	v_fmac_f16_e32 v119, 0x36a6, v106
	v_add_f16_e32 v97, v99, v97
	v_add_f16_e32 v30, v30, v90
	v_fma_f16 v62, v75, 0x36a6, -v62
	v_mul_f16_e32 v99, 0x36a6, v89
	v_add_f16_e32 v29, v81, v78
	v_add_f16_e32 v0, v0, v5
	v_fmamk_f16 v5, v82, 0xb08e, v7
	v_mul_f16_e32 v57, 0xba0c, v98
	v_add_f16_e32 v22, v87, v22
	v_add_f16_e32 v114, v117, v114
	v_fmamk_f16 v117, v75, 0xb93d, v118
	v_mul_f16_e32 v120, 0x3b47, v58
	v_add_f16_e32 v110, v24, v110
	v_fma_f16 v115, v59, 0x3abb, -v115
	v_add_f16_e32 v90, v119, v103
	v_add_f16_e32 v30, v62, v30
	v_fma_f16 v28, v84, 0x3abb, -v28
	v_fmamk_f16 v62, v4, 0x3b47, v99
	v_mul_f16_e32 v103, 0xb93d, v59
	v_add_f16_e32 v0, v1, v0
	v_add_f16_e32 v1, v5, v29
	v_fmamk_f16 v5, v100, 0xb93d, v57
	v_mul_f16_e32 v29, 0xb482, v102
	v_add_f16_e32 v22, v86, v22
	v_add_f16_e32 v114, v117, v114
	v_fmamk_f16 v117, v84, 0x36a6, v120
	v_add_f16_e32 v94, v111, v94
	v_fma_f16 v111, v85, 0xbbad, -v121
	v_add_f16_e32 v110, v115, v110
	v_fma_f16 v115, v75, 0xb93d, -v118
	v_fmac_f16_e32 v121, 0xbbad, v85
	v_add_f16_e32 v28, v28, v30
	v_add_f16_e32 v30, v24, v62
	v_fmamk_f16 v62, v10, 0x3a0c, v103
	v_mul_f16_e32 v93, 0xbbad, v75
	v_add_f16_e32 v0, v2, v0
	v_add_f16_e32 v1, v5, v1
	v_fmamk_f16 v2, v106, 0xbbad, v29
	v_add_f16_e32 v5, v61, v22
	v_add_f16_e32 v114, v117, v114
	v_mul_f16_e32 v117, 0xbbeb, v91
	v_add_f16_e32 v111, v23, v111
	v_fma_f16 v122, v56, 0x3abb, -v113
	v_mul_f16_e32 v123, 0xba0c, v27
	v_add_f16_e32 v110, v115, v110
	v_fma_f16 v115, v84, 0x36a6, -v120
	v_add_f16_e32 v120, v23, v121
	v_fmac_f16_e32 v113, 0x3abb, v56
	v_fma_f16 v88, v96, 0xb93d, -v95
	v_add_f16_e32 v30, v62, v30
	v_fmamk_f16 v62, v60, 0xb482, v93
	v_mul_f16_e32 v95, 0xb08e, v84
	v_mul_f16_e32 v89, 0x3abb, v89
	v_add_f16_e32 v0, v3, v0
	v_add_f16_e32 v1, v2, v1
	;; [unrolled: 1-line block ×3, first 2 shown]
	v_fma_f16 v5, v85, 0x36a6, -v101
	v_add_f16_e32 v111, v122, v111
	v_fma_f16 v122, v82, 0xb93d, -v123
	v_mul_f16_e32 v125, 0x3b47, v98
	v_add_f16_e32 v110, v115, v110
	v_fma_f16 v115, v96, 0xb08e, -v117
	v_add_f16_e32 v113, v113, v120
	v_fmac_f16_e32 v123, 0xb93d, v82
	v_add_f16_e32 v30, v62, v30
	v_fmamk_f16 v62, v58, 0xbbeb, v95
	v_fmamk_f16 v112, v4, 0x3853, v89
	v_mul_f16_e32 v59, 0x36a6, v59
	v_mul_f16_e32 v108, 0x3482, v27
	v_add_f16_e32 v0, v9, v0
	v_add_f16_e32 v5, v23, v5
	v_fma_f16 v9, v56, 0xb93d, -v105
	v_fma_f16 v118, v100, 0x36a6, -v125
	v_add_f16_e32 v110, v115, v110
	v_add_f16_e32 v113, v123, v113
	v_fmac_f16_e32 v125, 0x36a6, v100
	v_fmac_f16_e32 v107, 0xb93d, v106
	v_add_f16_e32 v28, v88, v28
	v_fmamk_f16 v88, v85, 0x36a6, v101
	v_add_f16_e32 v30, v62, v30
	v_mul_f16_e32 v62, 0x3abb, v96
	v_add_f16_e32 v112, v24, v112
	v_fmamk_f16 v115, v10, 0x3b47, v59
	v_mul_f16_e32 v75, 0xb08e, v75
	v_fmac_f16_e32 v99, 0xbb47, v4
	v_fmac_f16_e32 v89, 0xb853, v4
	v_add_f16_e32 v4, v9, v5
	v_fma_f16 v5, v82, 0xbbad, -v108
	v_fma_f16 v9, v85, 0x3abb, -v25
	v_add_f16_e32 v104, v125, v113
	v_add_f16_e32 v83, v107, v83
	v_add_f16_e32 v88, v23, v88
	v_fmamk_f16 v107, v56, 0xb93d, v105
	v_fmamk_f16 v109, v91, 0xb853, v62
	v_mul_f16_e32 v113, 0x3beb, v98
	v_add_f16_e32 v112, v115, v112
	v_fmamk_f16 v115, v60, 0x3beb, v75
	v_mul_f16_e32 v84, 0xb93d, v84
	v_add_f16_e32 v3, v24, v99
	v_fmac_f16_e32 v103, 0xba0c, v10
	v_add_f16_e32 v22, v24, v89
	v_fmac_f16_e32 v59, 0xbb47, v10
	v_add_f16_e32 v4, v5, v4
	v_add_f16_e32 v5, v23, v9
	v_fma_f16 v9, v56, 0x36a6, -v92
	v_add_f16_e32 v88, v107, v88
	v_fmamk_f16 v107, v82, 0xbbad, v108
	v_add_f16_e32 v30, v109, v30
	v_add_f16_e32 v109, v115, v112
	v_fmamk_f16 v112, v58, 0x3a0c, v84
	v_mul_f16_e32 v6, 0xbbad, v96
	v_fma_f16 v10, v100, 0xb08e, -v113
	v_add_f16_e32 v3, v103, v3
	v_fmac_f16_e32 v93, 0x3482, v60
	v_add_f16_e32 v22, v59, v22
	v_fmac_f16_e32 v75, 0xbbeb, v60
	v_add_f16_e32 v5, v9, v5
	v_fma_f16 v7, v82, 0xb08e, -v7
	v_add_f16_e32 v88, v107, v88
	v_fmamk_f16 v107, v100, 0xb08e, v113
	v_mul_f16_e32 v116, 0x3853, v102
	v_add_f16_e32 v64, v112, v109
	v_fmamk_f16 v27, v91, 0x3482, v6
	v_add_f16_e32 v4, v10, v4
	v_mul_u32_u24_e32 v10, 0x63, v53
	v_add_f16_e32 v111, v122, v111
	v_mul_f16_e32 v122, 0xbbeb, v102
	v_add_f16_e32 v3, v93, v3
	v_fmac_f16_e32 v95, 0x3beb, v58
	v_add_f16_e32 v9, v75, v22
	v_fmac_f16_e32 v84, 0xba0c, v58
	v_add_f16_e32 v5, v7, v5
	v_fma_f16 v7, v100, 0xb93d, -v57
	v_add_f16_e32 v88, v107, v88
	v_fmamk_f16 v107, v106, 0x3abb, v116
	v_add_f16_e32 v27, v27, v64
	v_add_f16_e32 v2, v80, v2
	v_add_f16_e32 v0, v63, v0
	v_add_nc_u32_e32 v10, v10, v52
	v_add_f16_e32 v111, v118, v111
	v_fma_f16 v118, v106, 0xb08e, -v122
	v_fmac_f16_e32 v122, 0xb08e, v106
	v_fmamk_f16 v124, v96, 0xb08e, v117
	v_add_f16_e32 v3, v95, v3
	v_fmac_f16_e32 v62, 0x3853, v91
	v_fma_f16 v22, v106, 0x3abb, -v116
	v_add_f16_e32 v9, v84, v9
	v_fmac_f16_e32 v6, 0xb482, v91
	v_add_f16_e32 v5, v7, v5
	v_fma_f16 v7, v106, 0xbbad, -v29
	v_add_f16_e32 v88, v107, v88
	v_lshl_add_u32 v10, v10, 2, v51
	v_pack_b32_f16 v0, v2, v0
	v_pack_b32_f16 v1, v1, v27
	v_add_f16_e32 v104, v122, v104
	v_add_f16_e32 v114, v124, v114
	;; [unrolled: 1-line block ×7, first 2 shown]
	ds_store_2addr_b32 v10, v0, v1 offset1:9
	v_pack_b32_f16 v0, v88, v30
	v_pack_b32_f16 v1, v83, v28
	;; [unrolled: 1-line block ×9, first 2 shown]
	ds_store_2addr_b32 v10, v0, v1 offset0:18 offset1:27
	ds_store_2addr_b32 v10, v6, v7 offset0:36 offset1:45
	;; [unrolled: 1-line block ×4, first 2 shown]
	ds_store_b32 v10, v3 offset:360
.LBB0_9:
	s_wait_alu 0xfffe
	s_or_b32 exec_lo, exec_lo, s0
	v_add_nc_u32_e32 v2, 0x200, v34
	v_add_nc_u32_e32 v0, 0x800, v34
	;; [unrolled: 1-line block ×3, first 2 shown]
	global_wb scope:SCOPE_SE
	s_wait_dscnt 0x0
	s_barrier_signal -1
	s_barrier_wait -1
	global_inv scope:SCOPE_SE
	ds_load_2addr_b32 v[3:4], v34 offset1:99
	ds_load_b32 v7, v34 offset:3168
	ds_load_2addr_b32 v[5:6], v2 offset0:70 offset1:169
	ds_load_2addr_b32 v[9:10], v0 offset0:82 offset1:181
	;; [unrolled: 1-line block ×3, first 2 shown]
	global_wb scope:SCOPE_SE
	s_wait_dscnt 0x0
	s_barrier_signal -1
	s_barrier_wait -1
	global_inv scope:SCOPE_SE
	s_mov_b32 s8, 0x7210aa18
	s_mov_b32 s9, 0x3f526369
	v_lshrrev_b32_e32 v25, 16, v7
	v_lshrrev_b32_e32 v26, 16, v6
	;; [unrolled: 1-line block ×3, first 2 shown]
	v_mul_f16_e32 v52, v68, v6
	v_lshrrev_b32_e32 v28, 16, v21
	v_lshrrev_b32_e32 v29, 16, v10
	;; [unrolled: 1-line block ×3, first 2 shown]
	v_mul_f16_e32 v53, v69, v9
	v_mul_f16_e32 v55, v68, v21
	;; [unrolled: 1-line block ×3, first 2 shown]
	v_fma_f16 v26, v11, v26, -v52
	v_mul_f16_e32 v52, v69, v27
	v_mul_f16_e32 v56, v69, v10
	v_fma_f16 v27, v12, v27, -v53
	v_mul_f16_e32 v53, v68, v28
	v_fma_f16 v28, v11, v28, -v55
	v_mul_f16_e32 v55, v69, v29
	v_mul_f16_e32 v58, v77, v51
	v_fmac_f16_e32 v57, v11, v6
	v_fmac_f16_e32 v52, v12, v9
	v_mul_f16_e32 v6, v77, v22
	v_lshrrev_b32_e32 v23, 16, v3
	v_fmac_f16_e32 v53, v11, v21
	v_fmac_f16_e32 v55, v12, v10
	v_fma_f16 v9, v12, v29, -v56
	v_mul_f16_e32 v10, v76, v25
	v_fmac_f16_e32 v58, v13, v22
	v_mul_f16_e32 v11, v76, v7
	v_fma_f16 v6, v13, v51, -v6
	v_add_f16_e32 v12, v57, v52
	v_add_f16_e32 v13, v26, v27
	v_fmac_f16_e32 v10, v14, v7
	v_add_f16_e32 v7, v3, v57
	v_fma_f16 v11, v14, v25, -v11
	v_fma_f16 v3, -0.5, v12, v3
	v_sub_f16_e32 v12, v26, v27
	v_add_f16_e32 v14, v23, v26
	v_fmac_f16_e32 v23, -0.5, v13
	v_sub_f16_e32 v13, v57, v52
	v_lshrrev_b32_e32 v24, 16, v4
	v_fmamk_f16 v21, v12, 0xbaee, v3
	v_fmac_f16_e32 v3, 0x3aee, v12
	v_add_f16_e32 v12, v14, v27
	v_add_f16_e32 v14, v53, v55
	v_fmamk_f16 v22, v13, 0x3aee, v23
	v_fmac_f16_e32 v23, 0xbaee, v13
	v_add_f16_e32 v13, v28, v9
	v_add_f16_e32 v25, v4, v53
	v_fmac_f16_e32 v4, -0.5, v14
	v_sub_f16_e32 v14, v28, v9
	v_add_f16_e32 v26, v24, v28
	v_fmac_f16_e32 v24, -0.5, v13
	v_sub_f16_e32 v13, v53, v55
	v_lshrrev_b32_e32 v30, 16, v5
	v_fmamk_f16 v27, v14, 0xbaee, v4
	v_fmac_f16_e32 v4, 0x3aee, v14
	v_add_f16_e32 v9, v26, v9
	v_add_f16_e32 v14, v58, v10
	v_fmamk_f16 v26, v13, 0x3aee, v24
	v_fmac_f16_e32 v24, 0xbaee, v13
	v_add_f16_e32 v13, v6, v11
	v_add_f16_e32 v28, v5, v58
	v_fmac_f16_e32 v5, -0.5, v14
	v_sub_f16_e32 v14, v6, v11
	v_add_f16_e32 v6, v30, v6
	v_fmac_f16_e32 v30, -0.5, v13
	v_sub_f16_e32 v13, v58, v10
	v_add_f16_e32 v7, v7, v52
	v_add_f16_e32 v25, v25, v55
	;; [unrolled: 1-line block ×3, first 2 shown]
	v_fmamk_f16 v28, v14, 0xbaee, v5
	v_add_f16_e32 v6, v6, v11
	v_fmamk_f16 v11, v13, 0x3aee, v30
	v_fmac_f16_e32 v5, 0x3aee, v14
	v_fmac_f16_e32 v30, 0xbaee, v13
	v_pack_b32_f16 v7, v7, v12
	v_pack_b32_f16 v12, v21, v22
	;; [unrolled: 1-line block ×8, first 2 shown]
	v_add_nc_u32_e32 v11, 0x800, v65
	v_pack_b32_f16 v5, v5, v30
	ds_store_2addr_b32 v34, v7, v12 offset1:99
	ds_store_2addr_b32 v2, v3, v9 offset0:70 offset1:169
	ds_store_2addr_b32 v1, v13, v4 offset0:140 offset1:239
	;; [unrolled: 1-line block ×3, first 2 shown]
	ds_store_b32 v65, v5 offset:3168
	global_wb scope:SCOPE_SE
	s_wait_dscnt 0x0
	s_barrier_signal -1
	s_barrier_wait -1
	global_inv scope:SCOPE_SE
	ds_load_2addr_b32 v[3:4], v34 offset1:99
	ds_load_2addr_b32 v[5:6], v2 offset0:70 offset1:169
	ds_load_2addr_b32 v[9:10], v0 offset0:82 offset1:181
	;; [unrolled: 1-line block ×3, first 2 shown]
	ds_load_b32 v7, v34 offset:3168
	s_wait_dscnt 0x4
	v_lshrrev_b32_e32 v13, 16, v3
	s_wait_dscnt 0x3
	v_lshrrev_b32_e32 v14, 16, v6
	;; [unrolled: 2-line block ×4, first 2 shown]
	v_mul_f16_e32 v28, v74, v6
	v_lshrrev_b32_e32 v24, 16, v10
	v_mul_f16_e32 v26, v74, v14
	v_mul_f16_e32 v30, v73, v21
	v_lshrrev_b32_e32 v27, 16, v12
	v_fma_f16 v14, v19, v14, -v28
	s_wait_dscnt 0x0
	v_lshrrev_b32_e32 v29, 16, v7
	v_fmac_f16_e32 v26, v19, v6
	v_mul_f16_e32 v6, v73, v9
	v_mul_f16_e32 v19, v72, v23
	v_fmac_f16_e32 v30, v20, v9
	v_mul_f16_e32 v9, v72, v11
	v_lshrrev_b32_e32 v22, 16, v4
	v_fma_f16 v6, v20, v21, -v6
	v_mul_f16_e32 v20, v71, v24
	v_fmac_f16_e32 v19, v17, v11
	v_mul_f16_e32 v11, v71, v10
	v_fma_f16 v9, v17, v23, -v9
	v_mul_f16_e32 v17, v70, v27
	v_fmac_f16_e32 v20, v18, v10
	v_mul_f16_e32 v10, v70, v12
	;; [unrolled: 4-line block ×3, first 2 shown]
	v_fma_f16 v10, v15, v27, -v10
	v_add_f16_e32 v15, v26, v30
	v_fmac_f16_e32 v18, v16, v7
	v_add_f16_e32 v7, v3, v26
	v_fma_f16 v12, v16, v29, -v12
	v_add_f16_e32 v16, v14, v6
	v_fma_f16 v3, -0.5, v15, v3
	v_sub_f16_e32 v15, v14, v6
	v_add_f16_e32 v14, v13, v14
	v_add_f16_e32 v23, v4, v19
	v_fmac_f16_e32 v13, -0.5, v16
	v_sub_f16_e32 v16, v26, v30
	v_fmamk_f16 v21, v15, 0xbaee, v3
	v_fmac_f16_e32 v3, 0x3aee, v15
	v_add_f16_e32 v6, v14, v6
	v_add_f16_e32 v14, v19, v20
	v_fmamk_f16 v15, v16, 0x3aee, v13
	v_fmac_f16_e32 v13, 0xbaee, v16
	v_add_f16_e32 v16, v9, v11
	v_lshrrev_b32_e32 v25, 16, v5
	v_fmac_f16_e32 v4, -0.5, v14
	v_sub_f16_e32 v14, v9, v11
	v_add_f16_e32 v23, v23, v20
	v_add_f16_e32 v9, v22, v9
	v_fmac_f16_e32 v22, -0.5, v16
	v_sub_f16_e32 v16, v19, v20
	v_add_f16_e32 v20, v17, v18
	v_fmamk_f16 v19, v14, 0xbaee, v4
	v_fmac_f16_e32 v4, 0x3aee, v14
	v_add_f16_e32 v9, v9, v11
	v_fmamk_f16 v11, v16, 0x3aee, v22
	v_add_f16_e32 v14, v5, v17
	v_fmac_f16_e32 v5, -0.5, v20
	v_sub_f16_e32 v20, v10, v12
	v_fmac_f16_e32 v22, 0xbaee, v16
	v_add_f16_e32 v16, v25, v10
	v_add_f16_e32 v10, v10, v12
	;; [unrolled: 1-line block ×3, first 2 shown]
	v_pack_b32_f16 v3, v3, v13
	v_add_f16_e32 v14, v14, v18
	v_add_f16_e32 v12, v16, v12
	v_fmac_f16_e32 v25, -0.5, v10
	v_sub_f16_e32 v10, v17, v18
	v_pack_b32_f16 v6, v7, v6
	v_pack_b32_f16 v7, v21, v15
	;; [unrolled: 1-line block ×3, first 2 shown]
	v_fmamk_f16 v24, v20, 0xbaee, v5
	v_fmamk_f16 v13, v10, 0x3aee, v25
	v_fmac_f16_e32 v5, 0x3aee, v20
	v_fmac_f16_e32 v25, 0xbaee, v10
	ds_store_b32 v34, v7 offset:1188
	ds_store_b32 v34, v3 offset:2376
	ds_store_2addr_b32 v34, v6, v9 offset1:99
	v_pack_b32_f16 v3, v19, v11
	v_pack_b32_f16 v4, v4, v22
	;; [unrolled: 1-line block ×5, first 2 shown]
	ds_store_b32 v66, v3 offset:1584
	ds_store_b32 v66, v4 offset:2772
	ds_store_b32 v34, v6 offset:792
	ds_store_b32 v54, v7 offset:1188
	ds_store_b32 v54, v5 offset:2376
	global_wb scope:SCOPE_SE
	s_wait_dscnt 0x0
	s_barrier_signal -1
	s_barrier_wait -1
	global_inv scope:SCOPE_SE
	ds_load_2addr_b32 v[3:4], v34 offset1:99
	s_wait_dscnt 0x0
	v_lshrrev_b32_e32 v7, 16, v3
	v_mul_f16_e32 v11, v49, v4
	s_delay_alu instid0(VALU_DEP_2) | instskip(NEXT) | instid1(VALU_DEP_1)
	v_mul_f16_e32 v5, v50, v7
	v_fmac_f16_e32 v5, v48, v3
	v_mul_f16_e32 v3, v50, v3
	s_delay_alu instid0(VALU_DEP_2) | instskip(NEXT) | instid1(VALU_DEP_2)
	v_cvt_f32_f16_e32 v5, v5
	v_fma_f16 v3, v48, v7, -v3
	s_delay_alu instid0(VALU_DEP_2) | instskip(NEXT) | instid1(VALU_DEP_2)
	v_cvt_f64_f32_e32 v[5:6], v5
	v_cvt_f32_f16_e32 v3, v3
	s_delay_alu instid0(VALU_DEP_1) | instskip(SKIP_1) | instid1(VALU_DEP_1)
	v_cvt_f64_f32_e32 v[9:10], v3
	v_lshrrev_b32_e32 v3, 16, v4
	v_mul_f16_e32 v7, v49, v3
	v_fma_f16 v3, v47, v3, -v11
	s_delay_alu instid0(VALU_DEP_2) | instskip(NEXT) | instid1(VALU_DEP_2)
	v_fmac_f16_e32 v7, v47, v4
	v_cvt_f32_f16_e32 v13, v3
	s_delay_alu instid0(VALU_DEP_1) | instskip(SKIP_3) | instid1(VALU_DEP_3)
	v_cvt_f64_f32_e32 v[13:14], v13
	s_wait_alu 0xfffe
	v_mul_f64_e32 v[5:6], s[8:9], v[5:6]
	v_mul_f64_e32 v[9:10], s[8:9], v[9:10]
	;; [unrolled: 1-line block ×3, first 2 shown]
	s_delay_alu instid0(VALU_DEP_3) | instskip(SKIP_3) | instid1(VALU_DEP_4)
	v_and_or_b32 v4, 0x1ff, v6, v5
	v_cvt_f32_f16_e32 v5, v7
	v_lshrrev_b32_e32 v7, 8, v6
	v_bfe_u32 v17, v6, 20, 11
	v_cmp_ne_u32_e32 vcc_lo, 0, v4
	s_delay_alu instid0(VALU_DEP_4) | instskip(SKIP_1) | instid1(VALU_DEP_4)
	v_cvt_f64_f32_e32 v[3:4], v5
	v_lshrrev_b32_e32 v15, 8, v10
	v_sub_nc_u32_e32 v5, 0x3f1, v17
	v_bfe_u32 v18, v10, 20, 11
	s_wait_alu 0xfffd
	v_cndmask_b32_e64 v11, 0, 1, vcc_lo
	v_add_nc_u32_e32 v17, 0xfffffc10, v17
	v_med3_i32 v5, v5, 0, 13
	v_sub_nc_u32_e32 v20, 0x3f1, v18
	s_delay_alu instid0(VALU_DEP_4)
	v_and_or_b32 v7, 0xffe, v7, v11
	ds_load_2addr_b32 v[11:12], v2 offset0:70 offset1:169
	v_and_or_b32 v2, 0x1ff, v10, v9
	v_add_nc_u32_e32 v18, 0xfffffc10, v18
	v_lshrrev_b32_e32 v10, 16, v10
	v_or_b32_e32 v9, 0x1000, v7
	v_lshl_or_b32 v22, v17, 12, v7
	v_cmp_ne_u32_e32 vcc_lo, 0, v2
	v_cmp_gt_i32_e64 s1, 1, v18
	v_and_or_b32 v13, 0x1ff, v14, v13
	v_lshrrev_b32_e32 v19, v5, v9
	s_wait_alu 0xfffd
	v_cndmask_b32_e64 v2, 0, 1, vcc_lo
	s_delay_alu instid0(VALU_DEP_1) | instskip(NEXT) | instid1(VALU_DEP_3)
	v_and_or_b32 v21, 0xffe, v15, v2
	v_lshlrev_b32_e32 v2, v5, v19
	v_med3_i32 v5, v20, 0, 13
	v_mad_co_u64_u32 v[15:16], null, s6, v8, 0
	s_delay_alu instid0(VALU_DEP_4) | instskip(NEXT) | instid1(VALU_DEP_4)
	v_or_b32_e32 v20, 0x1000, v21
	v_cmp_ne_u32_e32 vcc_lo, v2, v9
	s_wait_dscnt 0x0
	v_lshrrev_b32_e32 v23, 16, v11
	s_delay_alu instid0(VALU_DEP_3)
	v_lshrrev_b32_e32 v9, v5, v20
	s_wait_alu 0xfffd
	v_cndmask_b32_e64 v2, 0, 1, vcc_lo
	v_cmp_gt_i32_e32 vcc_lo, 1, v17
	v_mul_f64_e32 v[3:4], s[8:9], v[3:4]
	v_lshlrev_b32_e32 v5, v5, v9
	s_delay_alu instid0(VALU_DEP_4) | instskip(SKIP_2) | instid1(VALU_DEP_2)
	v_or_b32_e32 v19, v19, v2
	v_mov_b32_e32 v2, v16
	s_wait_alu 0xfffd
	v_cndmask_b32_e32 v16, v22, v19, vcc_lo
	v_cmp_ne_u32_e32 vcc_lo, v5, v20
	v_lshl_or_b32 v22, v18, 12, v21
	v_mul_f16_e32 v20, v46, v23
	s_delay_alu instid0(VALU_DEP_4) | instskip(SKIP_2) | instid1(VALU_DEP_3)
	v_and_b32_e32 v19, 7, v16
	s_wait_alu 0xfffd
	v_cndmask_b32_e64 v5, 0, 1, vcc_lo
	v_fmac_f16_e32 v20, v45, v11
	s_delay_alu instid0(VALU_DEP_3) | instskip(NEXT) | instid1(VALU_DEP_3)
	v_cmp_lt_i32_e32 vcc_lo, 5, v19
	v_or_b32_e32 v5, v9, v5
	v_cmp_eq_u32_e64 s0, 3, v19
	v_lshrrev_b32_e32 v9, 2, v16
	v_lshrrev_b32_e32 v19, 16, v6
	s_wait_alu 0xf1ff
	v_cndmask_b32_e64 v5, v22, v5, s1
	v_cmp_ne_u32_e64 s1, 0, v7
	s_or_b32 vcc_lo, s0, vcc_lo
	s_wait_alu 0xfffe
	v_add_co_ci_u32_e32 v9, vcc_lo, 0, v9, vcc_lo
	s_delay_alu instid0(VALU_DEP_2)
	v_cndmask_b32_e64 v7, 0, 1, s1
	v_and_b32_e32 v16, 7, v5
	v_cmp_gt_i32_e32 vcc_lo, 31, v17
	v_lshrrev_b32_e32 v5, 2, v5
	v_cmp_eq_u32_e64 s1, 0x40f, v17
	v_lshl_or_b32 v6, v7, 9, 0x7c00
	v_cmp_eq_u32_e64 s0, 3, v16
	s_wait_alu 0xfffd
	v_cndmask_b32_e32 v7, 0x7c00, v9, vcc_lo
	v_cmp_lt_i32_e32 vcc_lo, 5, v16
	v_and_or_b32 v17, 0x1ff, v4, v3
	s_wait_alu 0xf1ff
	s_delay_alu instid0(VALU_DEP_3)
	v_cndmask_b32_e64 v7, v7, v6, s1
	s_or_b32 vcc_lo, s0, vcc_lo
	s_wait_alu 0xfffe
	v_add_co_ci_u32_e32 v9, vcc_lo, 0, v5, vcc_lo
	v_cmp_gt_i32_e32 vcc_lo, 31, v18
	v_mad_co_u64_u32 v[5:6], null, s7, v8, v[2:3]
	v_cvt_f32_f16_e32 v2, v20
	v_and_or_b32 v16, 0x8000, v19, v7
	s_wait_alu 0xfffd
	v_cndmask_b32_e32 v8, 0x7c00, v9, vcc_lo
	v_cmp_ne_u32_e32 vcc_lo, 0, v21
	v_lshrrev_b32_e32 v19, 8, v4
	v_cvt_f64_f32_e32 v[2:3], v2
	v_bfe_u32 v20, v4, 20, 11
	v_mad_co_u64_u32 v[6:7], null, s4, v43, 0
	s_wait_alu 0xfffd
	v_cndmask_b32_e64 v9, 0, 1, vcc_lo
	v_cmp_ne_u32_e32 vcc_lo, 0, v17
	v_lshrrev_b32_e32 v4, 16, v4
	s_delay_alu instid0(VALU_DEP_3)
	v_lshl_or_b32 v9, v9, 9, 0x7c00
	s_wait_alu 0xfffd
	v_cndmask_b32_e64 v17, 0, 1, vcc_lo
	v_cmp_eq_u32_e32 vcc_lo, 0x40f, v18
	v_sub_nc_u32_e32 v18, 0x3f1, v20
	v_add_nc_u32_e32 v20, 0xfffffc10, v20
	s_delay_alu instid0(VALU_DEP_4)
	v_and_or_b32 v17, 0xffe, v19, v17
	s_wait_alu 0xfffd
	v_cndmask_b32_e32 v9, v8, v9, vcc_lo
	v_mad_co_u64_u32 v[7:8], null, s5, v43, v[7:8]
	v_med3_i32 v18, v18, 0, 13
	v_or_b32_e32 v8, 0x1000, v17
	s_delay_alu instid0(VALU_DEP_4)
	v_and_or_b32 v9, 0x8000, v10, v9
	v_and_b32_e32 v10, 0xffff, v16
	v_mov_b32_e32 v16, v5
	v_cmp_ne_u32_e32 vcc_lo, 0, v13
	v_lshrrev_b32_e32 v5, v18, v8
	v_lshrrev_b32_e32 v13, 8, v14
	v_lshl_or_b32 v19, v9, 16, v10
	v_mul_f16_e32 v9, v46, v11
	s_wait_alu 0xfffd
	v_cndmask_b32_e64 v11, 0, 1, vcc_lo
	v_lshlrev_b32_e32 v10, v18, v5
	v_bfe_u32 v18, v14, 20, 11
	v_lshl_or_b32 v22, v20, 12, v17
	v_fma_f16 v9, v45, v23, -v9
	v_and_or_b32 v13, 0xffe, v13, v11
	v_cmp_ne_u32_e32 vcc_lo, v10, v8
	v_sub_nc_u32_e32 v10, 0x3f1, v18
	v_lshrrev_b32_e32 v14, 16, v14
	v_cvt_f32_f16_e32 v9, v9
	v_mul_f64_e32 v[2:3], s[8:9], v[2:3]
	s_wait_alu 0xfffd
	v_cndmask_b32_e64 v8, 0, 1, vcc_lo
	v_cmp_gt_i32_e32 vcc_lo, 1, v20
	v_or_b32_e32 v23, 0x1000, v13
	v_med3_i32 v24, v10, 0, 13
	v_lshlrev_b64_e32 v[10:11], 2, v[15:16]
	v_or_b32_e32 v21, v5, v8
	v_cvt_f64_f32_e32 v[8:9], v9
	v_lshlrev_b64_e32 v[5:6], 2, v[6:7]
	v_lshrrev_b32_e32 v15, v24, v23
	s_wait_alu 0xfffd
	v_cndmask_b32_e32 v7, v22, v21, vcc_lo
	v_add_co_u32 v10, vcc_lo, s2, v10
	s_wait_alu 0xfffd
	v_add_co_ci_u32_e32 v11, vcc_lo, s3, v11, vcc_lo
	s_delay_alu instid0(VALU_DEP_3)
	v_and_b32_e32 v16, 7, v7
	v_lshlrev_b32_e32 v21, v24, v15
	v_add_co_u32 v5, vcc_lo, v10, v5
	s_wait_alu 0xfffd
	v_add_co_ci_u32_e32 v6, vcc_lo, v11, v6, vcc_lo
	v_cmp_lt_i32_e32 vcc_lo, 5, v16
	v_cmp_eq_u32_e64 s0, 3, v16
	v_cmp_ne_u32_e64 s1, v21, v23
	v_lshrrev_b32_e32 v7, 2, v7
	v_lshrrev_b32_e32 v11, 16, v12
	v_add_nc_u32_e32 v16, 0xfffffc10, v18
	s_or_b32 vcc_lo, s0, vcc_lo
	v_cndmask_b32_e64 v10, 0, 1, s1
	s_wait_alu 0xfffe
	v_add_co_ci_u32_e32 v18, vcc_lo, 0, v7, vcc_lo
	v_cmp_ne_u32_e32 vcc_lo, 0, v17
	global_store_b32 v[5:6], v19, off
	v_or_b32_e32 v7, v15, v10
	v_mul_f16_e32 v15, v44, v11
	v_lshl_or_b32 v10, v16, 12, v13
	s_wait_alu 0xfffd
	v_cndmask_b32_e64 v17, 0, 1, vcc_lo
	v_cmp_gt_i32_e32 vcc_lo, 1, v16
	v_and_or_b32 v2, 0x1ff, v3, v2
	v_fmac_f16_e32 v15, v42, v12
	v_lshrrev_b32_e32 v22, 8, v3
	v_lshl_or_b32 v17, v17, 9, 0x7c00
	s_wait_alu 0xfffd
	v_cndmask_b32_e32 v21, v10, v7, vcc_lo
	v_cmp_gt_i32_e32 vcc_lo, 31, v20
	v_mul_f64_e32 v[7:8], s[8:9], v[8:9]
	v_cvt_f32_f16_e32 v9, v15
	v_bfe_u32 v23, v3, 20, 11
	s_wait_alu 0xfffd
	v_dual_cndmask_b32 v18, 0x7c00, v18 :: v_dual_and_b32 v15, 7, v21
	v_cmp_ne_u32_e32 vcc_lo, 0, v2
	v_cvt_f64_f32_e32 v[9:10], v9
	v_mul_f16_e32 v12, v44, v12
	s_delay_alu instid0(VALU_DEP_4)
	v_cmp_eq_u32_e64 s0, 3, v15
	s_mul_u64 s[2:3], s[4:5], 0x18c
	s_wait_alu 0xfffd
	v_cndmask_b32_e64 v2, 0, 1, vcc_lo
	v_cmp_eq_u32_e32 vcc_lo, 0x40f, v20
	v_fma_f16 v11, v42, v11, -v12
	v_lshrrev_b32_e32 v3, 16, v3
	s_wait_alu 0xfffd
	v_cndmask_b32_e32 v17, v18, v17, vcc_lo
	v_cmp_lt_i32_e32 vcc_lo, 5, v15
	v_lshrrev_b32_e32 v15, 2, v21
	v_and_or_b32 v18, 0xffe, v22, v2
	v_sub_nc_u32_e32 v2, 0x3f1, v23
	v_cvt_f32_f16_e32 v11, v11
	s_or_b32 vcc_lo, s0, vcc_lo
	v_and_or_b32 v4, 0x8000, v4, v17
	s_wait_alu 0xfffe
	v_add_co_ci_u32_e32 v12, vcc_lo, 0, v15, vcc_lo
	v_cmp_ne_u32_e32 vcc_lo, 0, v13
	v_or_b32_e32 v20, 0x1000, v18
	v_med3_i32 v2, v2, 0, 13
	v_add_nc_u32_e32 v17, 0xfffffc10, v23
	v_and_b32_e32 v4, 0xffff, v4
	s_wait_alu 0xfffd
	v_cndmask_b32_e64 v13, 0, 1, vcc_lo
	v_cmp_gt_i32_e32 vcc_lo, 31, v16
	v_lshrrev_b32_e32 v15, v2, v20
	s_delay_alu instid0(VALU_DEP_3)
	v_lshl_or_b32 v13, v13, 9, 0x7c00
	s_wait_alu 0xfffd
	v_cndmask_b32_e32 v21, 0x7c00, v12, vcc_lo
	v_cvt_f64_f32_e32 v[11:12], v11
	v_lshlrev_b32_e32 v2, v2, v15
	v_cmp_eq_u32_e32 vcc_lo, 0x40f, v16
	v_and_or_b32 v7, 0x1ff, v8, v7
	v_mul_f64_e32 v[9:10], s[8:9], v[9:10]
	s_wait_alu 0xfffd
	v_cndmask_b32_e32 v13, v21, v13, vcc_lo
	v_cmp_ne_u32_e32 vcc_lo, v2, v20
	v_lshrrev_b32_e32 v20, 8, v8
	v_bfe_u32 v21, v8, 20, 11
	ds_load_2addr_b32 v[1:2], v1 offset0:140 offset1:239
	v_and_or_b32 v13, 0x8000, v14, v13
	s_wait_alu 0xfffd
	v_cndmask_b32_e64 v16, 0, 1, vcc_lo
	v_cmp_ne_u32_e32 vcc_lo, 0, v7
	v_lshrrev_b32_e32 v8, 16, v8
	v_lshl_or_b32 v19, v13, 16, v4
	s_delay_alu instid0(VALU_DEP_4) | instskip(SKIP_4) | instid1(VALU_DEP_3)
	v_or_b32_e32 v14, v15, v16
	s_wait_alu 0xfffd
	v_cndmask_b32_e64 v7, 0, 1, vcc_lo
	v_lshl_or_b32 v15, v17, 12, v18
	v_cmp_gt_i32_e32 vcc_lo, 1, v17
	v_and_or_b32 v16, 0xffe, v20, v7
	v_sub_nc_u32_e32 v7, 0x3f1, v21
	s_wait_alu 0xfffd
	v_cndmask_b32_e32 v14, v15, v14, vcc_lo
	v_add_co_u32 v4, vcc_lo, v5, s2
	v_or_b32_e32 v15, 0x1000, v16
	v_med3_i32 v7, v7, 0, 13
	s_delay_alu instid0(VALU_DEP_4)
	v_and_b32_e32 v13, 7, v14
	s_wait_alu 0xfffd
	v_add_co_ci_u32_e32 v5, vcc_lo, s3, v6, vcc_lo
	s_wait_dscnt 0x0
	v_lshrrev_b32_e32 v22, 16, v1
	v_lshrrev_b32_e32 v20, v7, v15
	v_cmp_lt_i32_e32 vcc_lo, 5, v13
	v_cmp_eq_u32_e64 s0, 3, v13
	global_store_b32 v[4:5], v19, off
	v_lshlrev_b32_e32 v23, v7, v20
	v_mul_f64_e32 v[6:7], s[8:9], v[11:12]
	v_lshrrev_b32_e32 v12, 2, v14
	s_or_b32 vcc_lo, s0, vcc_lo
	v_mul_f16_e32 v11, v41, v22
	v_cmp_ne_u32_e64 s1, v23, v15
	v_add_nc_u32_e32 v15, 0xfffffc10, v21
	s_wait_alu 0xfffe
	v_add_co_ci_u32_e32 v14, vcc_lo, 0, v12, vcc_lo
	v_cmp_ne_u32_e32 vcc_lo, 0, v18
	s_wait_alu 0xf1ff
	v_cndmask_b32_e64 v13, 0, 1, s1
	v_and_or_b32 v9, 0x1ff, v10, v9
	v_fmac_f16_e32 v11, v40, v1
	v_bfe_u32 v21, v10, 20, 11
	s_wait_alu 0xfffd
	v_cndmask_b32_e64 v18, 0, 1, vcc_lo
	v_or_b32_e32 v13, v20, v13
	v_lshl_or_b32 v20, v15, 12, v16
	v_cmp_gt_i32_e32 vcc_lo, 1, v15
	v_cvt_f32_f16_e32 v11, v11
	v_lshl_or_b32 v18, v18, 9, 0x7c00
	v_mul_f16_e32 v1, v41, v1
	s_wait_alu 0xfffd
	v_cndmask_b32_e32 v13, v20, v13, vcc_lo
	v_cmp_ne_u32_e32 vcc_lo, 0, v9
	v_lshrrev_b32_e32 v20, 8, v10
	v_cvt_f64_f32_e32 v[11:12], v11
	v_fma_f16 v1, v40, v22, -v1
	v_and_b32_e32 v23, 7, v13
	s_wait_alu 0xfffd
	v_cndmask_b32_e64 v9, 0, 1, vcc_lo
	v_cmp_gt_i32_e32 vcc_lo, 31, v17
	v_lshrrev_b32_e32 v13, 2, v13
	v_cvt_f32_f16_e32 v1, v1
	v_cmp_eq_u32_e64 s0, 3, v23
	v_and_or_b32 v9, 0xffe, v20, v9
	s_wait_alu 0xfffd
	v_cndmask_b32_e32 v14, 0x7c00, v14, vcc_lo
	v_sub_nc_u32_e32 v20, 0x3f1, v21
	v_cmp_eq_u32_e32 vcc_lo, 0x40f, v17
	v_add_nc_u32_e32 v21, 0xfffffc10, v21
	v_lshrrev_b32_e32 v10, 16, v10
	v_and_or_b32 v6, 0x1ff, v7, v6
	v_bfe_u32 v22, v7, 20, 11
	s_wait_alu 0xfffd
	v_cndmask_b32_e32 v17, v14, v18, vcc_lo
	v_or_b32_e32 v14, 0x1000, v9
	v_med3_i32 v18, v20, 0, 13
	v_cmp_lt_i32_e32 vcc_lo, 5, v23
	s_delay_alu instid0(VALU_DEP_4) | instskip(NEXT) | instid1(VALU_DEP_3)
	v_and_or_b32 v3, 0x8000, v3, v17
	v_lshrrev_b32_e32 v20, v18, v14
	s_or_b32 vcc_lo, s0, vcc_lo
	s_wait_alu 0xfffe
	v_add_co_ci_u32_e32 v23, vcc_lo, 0, v13, vcc_lo
	s_delay_alu instid0(VALU_DEP_2)
	v_lshlrev_b32_e32 v13, v18, v20
	v_cmp_ne_u32_e32 vcc_lo, 0, v6
	v_lshrrev_b32_e32 v18, 8, v7
	v_and_b32_e32 v3, 0xffff, v3
	s_wait_alu 0xfffd
	v_cndmask_b32_e64 v6, 0, 1, vcc_lo
	v_cmp_ne_u32_e32 vcc_lo, v13, v14
	v_cvt_f64_f32_e32 v[13:14], v1
	v_mul_f64_e32 v[11:12], s[8:9], v[11:12]
	s_delay_alu instid0(VALU_DEP_4) | instskip(SKIP_4) | instid1(VALU_DEP_3)
	v_and_or_b32 v6, 0xffe, v18, v6
	s_wait_alu 0xfffd
	v_cndmask_b32_e64 v24, 0, 1, vcc_lo
	v_cmp_ne_u32_e32 vcc_lo, 0, v16
	v_sub_nc_u32_e32 v18, 0x3f1, v22
	v_or_b32_e32 v16, v20, v24
	s_wait_alu 0xfffd
	v_cndmask_b32_e64 v1, 0, 1, vcc_lo
	v_cmp_gt_i32_e32 vcc_lo, 31, v15
	v_lshl_or_b32 v20, v21, 12, v9
	v_or_b32_e32 v24, 0x1000, v6
	v_med3_i32 v18, v18, 0, 13
	v_lshl_or_b32 v1, v1, 9, 0x7c00
	s_wait_alu 0xfffd
	v_cndmask_b32_e32 v23, 0x7c00, v23, vcc_lo
	v_cmp_gt_i32_e32 vcc_lo, 1, v21
	s_wait_alu 0xfffd
	v_cndmask_b32_e32 v16, v20, v16, vcc_lo
	v_lshrrev_b32_e32 v20, v18, v24
	v_cmp_eq_u32_e32 vcc_lo, 0x40f, v15
	s_delay_alu instid0(VALU_DEP_3) | instskip(SKIP_1) | instid1(VALU_DEP_3)
	v_and_b32_e32 v15, 7, v16
	s_wait_alu 0xfffd
	v_dual_cndmask_b32 v1, v23, v1 :: v_dual_lshlrev_b32 v18, v18, v20
	v_lshrrev_b32_e32 v23, 16, v7
	s_delay_alu instid0(VALU_DEP_3) | instskip(NEXT) | instid1(VALU_DEP_3)
	v_cmp_lt_i32_e32 vcc_lo, 5, v15
	v_cmp_ne_u32_e64 s0, v18, v24
	s_delay_alu instid0(VALU_DEP_4)
	v_and_or_b32 v17, 0x8000, v8, v1
	v_lshrrev_b32_e32 v8, 2, v16
	v_add_nc_u32_e32 v18, 0xfffffc10, v22
	s_wait_alu 0xf1ff
	v_cndmask_b32_e64 v1, 0, 1, s0
	v_cmp_eq_u32_e64 s0, 3, v15
	v_and_or_b32 v11, 0x1ff, v12, v11
	v_lshl_or_b32 v15, v18, 12, v6
	v_bfe_u32 v22, v12, 20, 11
	v_or_b32_e32 v1, v20, v1
	s_or_b32 vcc_lo, s0, vcc_lo
	v_lshrrev_b32_e32 v20, 8, v12
	s_wait_alu 0xfffe
	v_add_co_ci_u32_e32 v16, vcc_lo, 0, v8, vcc_lo
	v_cmp_ne_u32_e32 vcc_lo, 0, v9
	v_mul_f64_e32 v[8:9], s[8:9], v[13:14]
	v_lshl_or_b32 v17, v17, 16, v3
	v_lshrrev_b32_e32 v12, 16, v12
	s_wait_alu 0xfffd
	v_cndmask_b32_e64 v19, 0, 1, vcc_lo
	v_cmp_gt_i32_e32 vcc_lo, 1, v18
	s_wait_alu 0xfffd
	v_cndmask_b32_e32 v1, v15, v1, vcc_lo
	v_lshrrev_b32_e32 v15, 16, v2
	v_cmp_gt_i32_e32 vcc_lo, 31, v21
	s_delay_alu instid0(VALU_DEP_2)
	v_mul_f16_e32 v14, v39, v15
	s_wait_alu 0xfffd
	v_cndmask_b32_e32 v13, 0x7c00, v16, vcc_lo
	v_cmp_ne_u32_e32 vcc_lo, 0, v11
	v_lshl_or_b32 v16, v19, 9, 0x7c00
	v_and_b32_e32 v19, 7, v1
	v_fmac_f16_e32 v14, v38, v2
	v_lshrrev_b32_e32 v1, 2, v1
	s_wait_alu 0xfffd
	v_cndmask_b32_e64 v11, 0, 1, vcc_lo
	v_cmp_eq_u32_e32 vcc_lo, 0x40f, v21
	v_cmp_eq_u32_e64 s0, 3, v19
	v_mul_f16_e32 v2, v39, v2
	s_delay_alu instid0(VALU_DEP_4)
	v_and_or_b32 v20, 0xffe, v20, v11
	s_wait_alu 0xfffd
	v_cndmask_b32_e32 v16, v13, v16, vcc_lo
	v_cvt_f32_f16_e32 v13, v14
	v_cmp_lt_i32_e32 vcc_lo, 5, v19
	v_sub_nc_u32_e32 v11, 0x3f1, v22
	v_or_b32_e32 v19, 0x1000, v20
	v_and_or_b32 v16, 0x8000, v10, v16
	v_cvt_f64_f32_e32 v[13:14], v13
	s_or_b32 vcc_lo, s0, vcc_lo
	v_med3_i32 v11, v11, 0, 13
	s_wait_alu 0xfffe
	v_add_co_ci_u32_e32 v1, vcc_lo, 0, v1, vcc_lo
	v_cmp_ne_u32_e32 vcc_lo, 0, v6
	v_and_b32_e32 v16, 0xffff, v16
	v_lshrrev_b32_e32 v21, v11, v19
	s_wait_alu 0xfffd
	v_cndmask_b32_e64 v6, 0, 1, vcc_lo
	v_cmp_gt_i32_e32 vcc_lo, 31, v18
	s_delay_alu instid0(VALU_DEP_3) | instskip(NEXT) | instid1(VALU_DEP_3)
	v_lshlrev_b32_e32 v10, v11, v21
	v_lshl_or_b32 v6, v6, 9, 0x7c00
	s_wait_alu 0xfffd
	v_cndmask_b32_e32 v1, 0x7c00, v1, vcc_lo
	v_cmp_eq_u32_e32 vcc_lo, 0x40f, v18
	s_wait_alu 0xfffd
	s_delay_alu instid0(VALU_DEP_2)
	v_cndmask_b32_e32 v18, v1, v6, vcc_lo
	v_fma_f16 v1, v38, v15, -v2
	v_and_or_b32 v2, 0x1ff, v9, v8
	v_cmp_ne_u32_e32 vcc_lo, v10, v19
	v_add_nc_u32_e32 v8, 0xfffffc10, v22
	v_lshrrev_b32_e32 v10, 8, v9
	v_cvt_f32_f16_e32 v1, v1
	v_bfe_u32 v15, v9, 20, 11
	s_wait_alu 0xfffd
	v_cndmask_b32_e64 v6, 0, 1, vcc_lo
	v_cmp_ne_u32_e32 vcc_lo, 0, v2
	v_lshl_or_b32 v19, v8, 12, v20
	v_cvt_f64_f32_e32 v[1:2], v1
	s_delay_alu instid0(VALU_DEP_4) | instskip(SKIP_3) | instid1(VALU_DEP_2)
	v_or_b32_e32 v11, v21, v6
	s_wait_alu 0xfffd
	v_cndmask_b32_e64 v7, 0, 1, vcc_lo
	v_cmp_gt_i32_e32 vcc_lo, 1, v8
	v_and_or_b32 v21, 0xffe, v10, v7
	ds_load_2addr_b32 v[6:7], v0 offset0:82 offset1:181
	v_sub_nc_u32_e32 v0, 0x3f1, v15
	s_wait_alu 0xfffd
	v_cndmask_b32_e32 v19, v19, v11, vcc_lo
	v_mul_f64_e32 v[10:11], s[8:9], v[13:14]
	v_or_b32_e32 v13, 0x1000, v21
	v_and_or_b32 v14, 0x8000, v23, v18
	v_med3_i32 v0, v0, 0, 13
	v_and_b32_e32 v18, 7, v19
	v_add_co_u32 v3, vcc_lo, v4, s2
	s_wait_alu 0xfffd
	v_add_co_ci_u32_e32 v4, vcc_lo, s3, v5, vcc_lo
	v_lshrrev_b32_e32 v22, v0, v13
	v_cmp_lt_i32_e32 vcc_lo, 5, v18
	v_cmp_eq_u32_e64 s0, 3, v18
	v_lshrrev_b32_e32 v5, 2, v19
	v_add_nc_u32_e32 v19, 0xfffffc10, v15
	v_lshlrev_b32_e32 v0, v0, v22
	v_lshl_or_b32 v23, v14, 16, v16
	s_or_b32 vcc_lo, s0, vcc_lo
	s_wait_dscnt 0x0
	v_lshrrev_b32_e32 v18, 16, v6
	s_wait_alu 0xfffe
	v_add_co_ci_u32_e32 v5, vcc_lo, 0, v5, vcc_lo
	v_cmp_ne_u32_e64 s1, v0, v13
	v_cmp_ne_u32_e32 vcc_lo, 0, v20
	v_mul_f16_e32 v13, v37, v18
	v_lshl_or_b32 v15, v19, 12, v21
	s_wait_alu 0xf1ff
	v_cndmask_b32_e64 v0, 0, 1, s1
	s_wait_alu 0xfffd
	v_cndmask_b32_e64 v16, 0, 1, vcc_lo
	v_fmac_f16_e32 v13, v36, v6
	v_cmp_gt_i32_e32 vcc_lo, 1, v19
	v_or_b32_e32 v14, v22, v0
	v_mul_f64_e32 v[0:1], s[8:9], v[1:2]
	s_delay_alu instid0(VALU_DEP_4)
	v_cvt_f32_f16_e32 v13, v13
	v_lshl_or_b32 v20, v16, 9, 0x7c00
	s_wait_alu 0xfffd
	v_cndmask_b32_e32 v2, v15, v14, vcc_lo
	v_cmp_gt_i32_e32 vcc_lo, 31, v8
	v_cvt_f64_f32_e32 v[13:14], v13
	v_and_or_b32 v10, 0x1ff, v11, v10
	s_wait_alu 0xfffd
	v_dual_cndmask_b32 v5, 0x7c00, v5 :: v_dual_and_b32 v22, 7, v2
	v_add_co_u32 v15, vcc_lo, v3, s2
	s_wait_alu 0xfffd
	v_add_co_ci_u32_e32 v16, vcc_lo, s3, v4, vcc_lo
	v_cmp_eq_u32_e32 vcc_lo, 0x40f, v8
	v_cmp_ne_u32_e64 s0, 0, v10
	v_lshrrev_b32_e32 v2, 2, v2
	v_lshrrev_b32_e32 v10, 8, v11
	s_clause 0x1
	global_store_b32 v[3:4], v17, off
	global_store_b32 v[15:16], v23, off
	s_wait_alu 0xfffd
	v_cndmask_b32_e32 v5, v5, v20, vcc_lo
	v_cmp_lt_i32_e32 vcc_lo, 5, v22
	s_wait_alu 0xf1ff
	v_cndmask_b32_e64 v8, 0, 1, s0
	v_cmp_eq_u32_e64 s0, 3, v22
	v_bfe_u32 v20, v11, 20, 11
	v_and_or_b32 v12, 0x8000, v12, v5
	v_lshrrev_b32_e32 v11, 16, v11
	v_and_or_b32 v10, 0xffe, v10, v8
	s_or_b32 vcc_lo, s0, vcc_lo
	v_sub_nc_u32_e32 v8, 0x3f1, v20
	s_wait_alu 0xfffe
	v_add_co_ci_u32_e32 v2, vcc_lo, 0, v2, vcc_lo
	v_cmp_ne_u32_e32 vcc_lo, 0, v21
	v_or_b32_e32 v22, 0x1000, v10
	v_med3_i32 v8, v8, 0, 13
	v_and_b32_e32 v12, 0xffff, v12
	s_wait_alu 0xfffd
	v_cndmask_b32_e64 v21, 0, 1, vcc_lo
	v_cmp_gt_i32_e32 vcc_lo, 31, v19
	v_and_or_b32 v0, 0x1ff, v1, v0
	v_lshrrev_b32_e32 v24, v8, v22
	v_bfe_u32 v25, v1, 20, 11
	v_lshl_or_b32 v21, v21, 9, 0x7c00
	s_wait_alu 0xfffd
	v_cndmask_b32_e32 v2, 0x7c00, v2, vcc_lo
	v_cmp_eq_u32_e32 vcc_lo, 0x40f, v19
	v_lshrrev_b32_e32 v19, 16, v9
	v_lshlrev_b32_e32 v8, v8, v24
	v_mul_f16_e32 v9, v37, v6
	v_mul_f64_e32 v[5:6], s[8:9], v[13:14]
	s_wait_alu 0xfffd
	v_cndmask_b32_e32 v2, v2, v21, vcc_lo
	v_cmp_ne_u32_e32 vcc_lo, 0, v0
	v_lshrrev_b32_e32 v21, 8, v1
	v_fma_f16 v9, v36, v18, -v9
	v_sub_nc_u32_e32 v14, 0x3f1, v25
	v_add_nc_u32_e32 v13, 0xfffffc10, v20
	s_wait_alu 0xfffd
	v_cndmask_b32_e64 v0, 0, 1, vcc_lo
	v_cmp_ne_u32_e32 vcc_lo, v8, v22
	v_cvt_f32_f16_e32 v9, v9
	v_med3_i32 v14, v14, 0, 13
	v_lshl_or_b32 v20, v13, 12, v10
	v_and_or_b32 v0, 0xffe, v21, v0
	s_wait_alu 0xfffd
	v_cndmask_b32_e64 v8, 0, 1, vcc_lo
	v_and_or_b32 v2, 0x8000, v19, v2
	v_cmp_gt_i32_e32 vcc_lo, 1, v13
	v_cmp_eq_u32_e64 s1, 0x40f, v13
	v_or_b32_e32 v21, 0x1000, v0
	v_or_b32_e32 v18, v24, v8
	v_cvt_f64_f32_e32 v[8:9], v9
	v_lshl_or_b32 v17, v2, 16, v12
	v_lshrrev_b32_e32 v1, 16, v1
	v_lshrrev_b32_e32 v19, v14, v21
	s_wait_alu 0xfffd
	v_cndmask_b32_e32 v18, v20, v18, vcc_lo
	v_add_co_u32 v2, vcc_lo, v15, s2
	s_wait_alu 0xfffd
	v_add_co_ci_u32_e32 v3, vcc_lo, s3, v16, vcc_lo
	v_lshlrev_b32_e32 v12, v14, v19
	v_and_b32_e32 v4, 7, v18
	v_lshrrev_b32_e32 v14, 16, v7
	v_add_nc_u32_e32 v15, 0xfffffc10, v25
	s_delay_alu instid0(VALU_DEP_4) | instskip(NEXT) | instid1(VALU_DEP_4)
	v_cmp_ne_u32_e64 s0, v12, v21
	v_cmp_lt_i32_e32 vcc_lo, 5, v4
	s_delay_alu instid0(VALU_DEP_4) | instskip(SKIP_1) | instid1(VALU_DEP_3)
	v_mul_f16_e32 v16, v35, v14
	s_wait_alu 0xf1ff
	v_cndmask_b32_e64 v12, 0, 1, s0
	v_cmp_eq_u32_e64 s0, 3, v4
	v_lshrrev_b32_e32 v4, 2, v18
	v_lshl_or_b32 v18, v15, 12, v0
	v_and_or_b32 v5, 0x1ff, v6, v5
	v_or_b32_e32 v12, v19, v12
	s_or_b32 vcc_lo, s0, vcc_lo
	v_fmac_f16_e32 v16, v33, v7
	s_wait_alu 0xfffe
	v_add_co_ci_u32_e32 v19, vcc_lo, 0, v4, vcc_lo
	v_cmp_gt_i32_e32 vcc_lo, 1, v15
	v_bfe_u32 v20, v6, 20, 11
	v_cvt_f32_f16_e32 v4, v16
	v_mul_f16_e32 v7, v35, v7
	s_wait_alu 0xfffd
	v_cndmask_b32_e32 v12, v18, v12, vcc_lo
	v_cmp_ne_u32_e32 vcc_lo, 0, v5
	v_lshrrev_b32_e32 v18, 8, v6
	v_cvt_f64_f32_e32 v[4:5], v4
	v_mul_f64_e32 v[8:9], s[8:9], v[8:9]
	v_and_b32_e32 v21, 7, v12
	s_wait_alu 0xfffd
	v_cndmask_b32_e64 v16, 0, 1, vcc_lo
	v_cmp_ne_u32_e32 vcc_lo, 0, v10
	v_lshrrev_b32_e32 v12, 2, v12
	v_fma_f16 v7, v33, v14, -v7
	v_cmp_eq_u32_e64 s0, 3, v21
	v_and_or_b32 v16, 0xffe, v18, v16
	s_wait_alu 0xfffd
	v_cndmask_b32_e64 v10, 0, 1, vcc_lo
	v_cmp_gt_i32_e32 vcc_lo, 31, v13
	v_sub_nc_u32_e32 v18, 0x3f1, v20
	v_cvt_f32_f16_e32 v7, v7
	v_or_b32_e32 v22, 0x1000, v16
	v_lshl_or_b32 v10, v10, 9, 0x7c00
	s_wait_alu 0xfffd
	v_cndmask_b32_e32 v19, 0x7c00, v19, vcc_lo
	v_cmp_lt_i32_e32 vcc_lo, 5, v21
	v_med3_i32 v18, v18, 0, 13
	v_lshrrev_b32_e32 v6, 16, v6
	s_delay_alu instid0(VALU_DEP_4) | instskip(SKIP_1) | instid1(VALU_DEP_3)
	v_cndmask_b32_e64 v10, v19, v10, s1
	s_or_b32 vcc_lo, s0, vcc_lo
	v_lshrrev_b32_e32 v13, v18, v22
	s_wait_alu 0xfffe
	v_add_co_ci_u32_e32 v12, vcc_lo, 0, v12, vcc_lo
	v_cmp_ne_u32_e32 vcc_lo, 0, v0
	v_and_or_b32 v10, 0x8000, v11, v10
	v_lshlrev_b32_e32 v18, v18, v13
	s_wait_alu 0xfffd
	v_cndmask_b32_e64 v0, 0, 1, vcc_lo
	v_cmp_gt_i32_e32 vcc_lo, 31, v15
	s_delay_alu instid0(VALU_DEP_2)
	v_lshl_or_b32 v0, v0, 9, 0x7c00
	s_wait_alu 0xfffd
	v_cndmask_b32_e32 v12, 0x7c00, v12, vcc_lo
	v_cmp_ne_u32_e32 vcc_lo, v18, v22
	v_mul_f64_e32 v[4:5], s[8:9], v[4:5]
	v_and_or_b32 v8, 0x1ff, v9, v8
	v_bfe_u32 v14, v9, 20, 11
	s_wait_alu 0xfffd
	v_cndmask_b32_e64 v11, 0, 1, vcc_lo
	v_cmp_eq_u32_e32 vcc_lo, 0x40f, v15
	ds_load_b32 v15, v34 offset:3168
	v_or_b32_e32 v11, v13, v11
	s_wait_alu 0xfffd
	v_cndmask_b32_e32 v0, v12, v0, vcc_lo
	v_add_nc_u32_e32 v12, 0xfffffc10, v20
	s_delay_alu instid0(VALU_DEP_2) | instskip(NEXT) | instid1(VALU_DEP_2)
	v_and_or_b32 v18, 0x8000, v1, v0
	v_lshl_or_b32 v13, v12, 12, v16
	v_cmp_gt_i32_e32 vcc_lo, 1, v12
	v_cvt_f64_f32_e32 v[0:1], v7
	v_sub_nc_u32_e32 v7, 0x3f1, v14
	s_wait_alu 0xfffd
	v_dual_cndmask_b32 v11, v13, v11 :: v_dual_add_nc_u32 v14, 0xfffffc10, v14
	v_cmp_ne_u32_e32 vcc_lo, 0, v8
	v_lshrrev_b32_e32 v13, 8, v9
	v_med3_i32 v7, v7, 0, 13
	s_delay_alu instid0(VALU_DEP_4) | instskip(SKIP_2) | instid1(VALU_DEP_2)
	v_and_b32_e32 v19, 7, v11
	s_wait_alu 0xfffd
	v_cndmask_b32_e64 v8, 0, 1, vcc_lo
	v_cmp_lt_i32_e32 vcc_lo, 5, v19
	s_delay_alu instid0(VALU_DEP_2)
	v_and_or_b32 v20, 0xffe, v13, v8
	v_and_b32_e32 v8, 0xffff, v10
	s_wait_dscnt 0x0
	v_lshrrev_b32_e32 v13, 16, v15
	v_cmp_eq_u32_e64 s0, 3, v19
	v_or_b32_e32 v10, 0x1000, v20
	v_lshl_or_b32 v18, v18, 16, v8
	v_lshrrev_b32_e32 v8, 2, v11
	v_mul_f16_e32 v21, v32, v13
	s_or_b32 vcc_lo, s0, vcc_lo
	v_lshrrev_b32_e32 v11, v7, v10
	v_and_or_b32 v4, 0x1ff, v5, v4
	s_wait_alu 0xfffe
	v_add_co_ci_u32_e32 v8, vcc_lo, 0, v8, vcc_lo
	v_fmac_f16_e32 v21, v31, v15
	v_cmp_ne_u32_e32 vcc_lo, 0, v16
	v_lshlrev_b32_e32 v19, v7, v11
	v_mul_f16_e32 v15, v32, v15
	v_bfe_u32 v22, v5, 20, 11
	v_cvt_f32_f16_e32 v7, v21
	s_wait_alu 0xfffd
	v_cndmask_b32_e64 v16, 0, 1, vcc_lo
	v_cmp_gt_i32_e32 vcc_lo, 31, v12
	v_mul_f64_e32 v[0:1], s[8:9], v[0:1]
	s_delay_alu instid0(VALU_DEP_3)
	v_lshl_or_b32 v16, v16, 9, 0x7c00
	s_wait_alu 0xfffd
	v_cndmask_b32_e32 v21, 0x7c00, v8, vcc_lo
	v_cvt_f64_f32_e32 v[7:8], v7
	v_cmp_ne_u32_e32 vcc_lo, v19, v10
	v_lshrrev_b32_e32 v19, 8, v5
	v_lshrrev_b32_e32 v5, 16, v5
	s_wait_alu 0xfffd
	v_cndmask_b32_e64 v10, 0, 1, vcc_lo
	v_cmp_ne_u32_e32 vcc_lo, 0, v4
	s_delay_alu instid0(VALU_DEP_2)
	v_or_b32_e32 v10, v11, v10
	s_wait_alu 0xfffd
	v_cndmask_b32_e64 v4, 0, 1, vcc_lo
	v_fma_f16 v11, v31, v13, -v15
	v_lshl_or_b32 v13, v14, 12, v20
	v_cmp_gt_i32_e32 vcc_lo, 1, v14
	v_sub_nc_u32_e32 v15, 0x3f1, v22
	v_and_or_b32 v4, 0xffe, v19, v4
	v_cvt_f32_f16_e32 v11, v11
	s_wait_alu 0xfffd
	v_cndmask_b32_e32 v19, v13, v10, vcc_lo
	v_cmp_eq_u32_e32 vcc_lo, 0x40f, v12
	v_or_b32_e32 v23, 0x1000, v4
	v_med3_i32 v15, v15, 0, 13
	v_cvt_f64_f32_e32 v[10:11], v11
	s_wait_alu 0xfffd
	v_dual_cndmask_b32 v16, v21, v16 :: v_dual_and_b32 v21, 7, v19
	v_add_co_u32 v12, vcc_lo, v2, s2
	v_lshrrev_b32_e32 v24, v15, v23
	s_wait_alu 0xfffd
	v_add_co_ci_u32_e32 v13, vcc_lo, s3, v3, vcc_lo
	v_cmp_lt_i32_e32 vcc_lo, 5, v21
	v_cmp_eq_u32_e64 s0, 3, v21
	v_lshrrev_b32_e32 v19, 2, v19
	v_lshlrev_b32_e32 v15, v15, v24
	v_and_or_b32 v16, 0x8000, v6, v16
	v_mul_f64_e32 v[6:7], s[8:9], v[7:8]
	s_or_b32 vcc_lo, s0, vcc_lo
	v_add_nc_u32_e32 v21, 0xfffffc10, v22
	s_wait_alu 0xfffe
	v_add_co_ci_u32_e32 v8, vcc_lo, 0, v19, vcc_lo
	v_cmp_ne_u32_e64 s1, v15, v23
	v_cmp_ne_u32_e32 vcc_lo, 0, v20
	v_lshl_or_b32 v20, v21, 12, v4
	v_and_or_b32 v0, 0x1ff, v1, v0
	v_lshrrev_b32_e32 v22, 8, v1
	s_wait_alu 0xf1ff
	v_cndmask_b32_e64 v15, 0, 1, s1
	s_wait_alu 0xfffd
	v_cndmask_b32_e64 v19, 0, 1, vcc_lo
	v_cmp_gt_i32_e32 vcc_lo, 31, v14
	s_delay_alu instid0(VALU_DEP_3) | instskip(NEXT) | instid1(VALU_DEP_3)
	v_or_b32_e32 v15, v24, v15
	v_lshl_or_b32 v19, v19, 9, 0x7c00
	s_wait_alu 0xfffd
	v_cndmask_b32_e32 v8, 0x7c00, v8, vcc_lo
	v_cmp_gt_i32_e32 vcc_lo, 1, v21
	s_wait_alu 0xfffd
	v_cndmask_b32_e32 v15, v20, v15, vcc_lo
	v_cmp_eq_u32_e32 vcc_lo, 0x40f, v14
	s_delay_alu instid0(VALU_DEP_2)
	v_and_b32_e32 v20, 7, v15
	s_wait_alu 0xfffd
	v_cndmask_b32_e32 v14, v8, v19, vcc_lo
	v_lshrrev_b32_e32 v19, 16, v9
	v_cmp_ne_u32_e32 vcc_lo, 0, v0
	v_mul_f64_e32 v[8:9], s[8:9], v[10:11]
	v_bfe_u32 v10, v1, 20, 11
	v_cmp_eq_u32_e64 s0, 3, v20
	v_and_or_b32 v11, 0x8000, v19, v14
	v_and_b32_e32 v14, 0xffff, v16
	s_wait_alu 0xfffd
	v_cndmask_b32_e64 v0, 0, 1, vcc_lo
	v_cmp_lt_i32_e32 vcc_lo, 5, v20
	v_sub_nc_u32_e32 v16, 0x3f1, v10
	v_and_or_b32 v6, 0x1ff, v7, v6
	v_lshl_or_b32 v11, v11, 16, v14
	v_lshrrev_b32_e32 v14, 2, v15
	v_and_or_b32 v0, 0xffe, v22, v0
	s_or_b32 vcc_lo, s0, vcc_lo
	v_med3_i32 v16, v16, 0, 13
	v_lshrrev_b32_e32 v20, 8, v7
	s_wait_alu 0xfffe
	v_add_co_ci_u32_e32 v14, vcc_lo, 0, v14, vcc_lo
	v_or_b32_e32 v15, 0x1000, v0
	v_cmp_ne_u32_e32 vcc_lo, 0, v4
	v_bfe_u32 v22, v7, 20, 11
	v_add_nc_u32_e32 v10, 0xfffffc10, v10
	v_lshrrev_b32_e32 v1, 16, v1
	v_lshrrev_b32_e32 v19, v16, v15
	s_wait_alu 0xfffd
	v_cndmask_b32_e64 v4, 0, 1, vcc_lo
	v_cmp_gt_i32_e32 vcc_lo, 31, v21
	v_lshrrev_b32_e32 v7, 16, v7
	v_lshlrev_b32_e32 v16, v16, v19
	s_delay_alu instid0(VALU_DEP_4)
	v_lshl_or_b32 v4, v4, 9, 0x7c00
	s_wait_alu 0xfffd
	v_cndmask_b32_e32 v14, 0x7c00, v14, vcc_lo
	v_cmp_ne_u32_e32 vcc_lo, 0, v6
	s_wait_alu 0xfffd
	v_cndmask_b32_e64 v6, 0, 1, vcc_lo
	v_cmp_ne_u32_e32 vcc_lo, v16, v15
	v_sub_nc_u32_e32 v16, 0x3f1, v22
	v_and_or_b32 v8, 0x1ff, v9, v8
	s_delay_alu instid0(VALU_DEP_4)
	v_and_or_b32 v6, 0xffe, v20, v6
	s_wait_alu 0xfffd
	v_cndmask_b32_e64 v15, 0, 1, vcc_lo
	v_cmp_eq_u32_e32 vcc_lo, 0x40f, v21
	v_med3_i32 v16, v16, 0, 13
	v_lshrrev_b32_e32 v20, 8, v9
	v_bfe_u32 v21, v9, 20, 11
	s_wait_alu 0xfffd
	v_cndmask_b32_e32 v4, v14, v4, vcc_lo
	v_or_b32_e32 v14, v19, v15
	v_lshl_or_b32 v15, v10, 12, v0
	v_or_b32_e32 v19, 0x1000, v6
	v_cmp_gt_i32_e32 vcc_lo, 1, v10
	v_and_or_b32 v4, 0x8000, v5, v4
	s_wait_alu 0xfffd
	v_cndmask_b32_e32 v14, v15, v14, vcc_lo
	v_lshrrev_b32_e32 v15, v16, v19
	v_cmp_ne_u32_e32 vcc_lo, 0, v8
	v_and_b32_e32 v4, 0xffff, v4
	s_delay_alu instid0(VALU_DEP_4) | instskip(NEXT) | instid1(VALU_DEP_4)
	v_and_b32_e32 v23, 7, v14
	v_lshlrev_b32_e32 v16, v16, v15
	s_wait_alu 0xfffd
	v_cndmask_b32_e64 v8, 0, 1, vcc_lo
	v_lshrrev_b32_e32 v14, 2, v14
	v_cmp_lt_i32_e32 vcc_lo, 5, v23
	v_cmp_ne_u32_e64 s0, v16, v19
	s_delay_alu instid0(VALU_DEP_4)
	v_and_or_b32 v5, 0xffe, v20, v8
	v_sub_nc_u32_e32 v8, 0x3f1, v21
	v_add_nc_u32_e32 v20, 0xfffffc10, v22
	s_wait_alu 0xf1ff
	v_cndmask_b32_e64 v16, 0, 1, s0
	v_cmp_eq_u32_e64 s0, 3, v23
	v_or_b32_e32 v19, 0x1000, v5
	v_med3_i32 v8, v8, 0, 13
	v_lshl_or_b32 v22, v20, 12, v6
	v_or_b32_e32 v15, v15, v16
	s_or_b32 vcc_lo, s0, vcc_lo
	s_wait_alu 0xfffe
	v_add_co_ci_u32_e32 v14, vcc_lo, 0, v14, vcc_lo
	v_lshrrev_b32_e32 v16, v8, v19
	v_cmp_gt_i32_e32 vcc_lo, 1, v20
	s_wait_alu 0xfffd
	s_delay_alu instid0(VALU_DEP_2) | instskip(SKIP_3) | instid1(VALU_DEP_3)
	v_dual_cndmask_b32 v15, v22, v15 :: v_dual_lshlrev_b32 v8, v8, v16
	v_cmp_ne_u32_e32 vcc_lo, 0, v0
	s_wait_alu 0xfffd
	v_cndmask_b32_e64 v0, 0, 1, vcc_lo
	v_cmp_ne_u32_e32 vcc_lo, v8, v19
	v_add_nc_u32_e32 v19, 0xfffffc10, v21
	v_and_b32_e32 v21, 7, v15
	s_delay_alu instid0(VALU_DEP_4)
	v_lshl_or_b32 v0, v0, 9, 0x7c00
	s_wait_alu 0xfffd
	v_cndmask_b32_e64 v8, 0, 1, vcc_lo
	v_cmp_gt_i32_e32 vcc_lo, 31, v10
	v_cmp_gt_i32_e64 s1, 1, v19
	v_cmp_eq_u32_e64 s0, 3, v21
	s_delay_alu instid0(VALU_DEP_4)
	v_or_b32_e32 v8, v16, v8
	v_lshl_or_b32 v16, v19, 12, v5
	s_wait_alu 0xfffd
	v_cndmask_b32_e32 v14, 0x7c00, v14, vcc_lo
	v_cmp_lt_i32_e32 vcc_lo, 5, v21
	s_wait_alu 0xf1ff
	v_cndmask_b32_e64 v8, v16, v8, s1
	v_cmp_eq_u32_e64 s1, 0x40f, v10
	v_lshrrev_b32_e32 v10, 2, v15
	s_or_b32 vcc_lo, s0, vcc_lo
	s_delay_alu instid0(VALU_DEP_2) | instskip(SKIP_1) | instid1(VALU_DEP_2)
	v_cndmask_b32_e64 v0, v14, v0, s1
	s_wait_alu 0xfffe
	v_add_co_ci_u32_e32 v10, vcc_lo, 0, v10, vcc_lo
	v_and_b32_e32 v14, 7, v8
	v_cmp_ne_u32_e32 vcc_lo, 0, v6
	v_lshrrev_b32_e32 v8, 2, v8
	v_cmp_gt_i32_e64 s1, 31, v20
	s_delay_alu instid0(VALU_DEP_4)
	v_cmp_eq_u32_e64 s0, 3, v14
	s_wait_alu 0xfffd
	v_cndmask_b32_e64 v6, 0, 1, vcc_lo
	v_cmp_lt_i32_e32 vcc_lo, 5, v14
	s_wait_alu 0xf1ff
	v_cndmask_b32_e64 v10, 0x7c00, v10, s1
	s_delay_alu instid0(VALU_DEP_3)
	v_lshl_or_b32 v6, v6, 9, 0x7c00
	s_or_b32 vcc_lo, s0, vcc_lo
	s_wait_alu 0xfffe
	v_add_co_ci_u32_e32 v8, vcc_lo, 0, v8, vcc_lo
	v_cmp_ne_u32_e32 vcc_lo, 0, v5
	s_wait_alu 0xfffd
	v_cndmask_b32_e64 v5, 0, 1, vcc_lo
	v_cmp_eq_u32_e32 vcc_lo, 0x40f, v20
	s_delay_alu instid0(VALU_DEP_2) | instskip(SKIP_4) | instid1(VALU_DEP_3)
	v_lshl_or_b32 v5, v5, 9, 0x7c00
	s_wait_alu 0xfffd
	v_cndmask_b32_e32 v6, v10, v6, vcc_lo
	v_cmp_gt_i32_e32 vcc_lo, 31, v19
	v_and_or_b32 v10, 0x8000, v1, v0
	v_and_or_b32 v6, 0x8000, v7, v6
	s_wait_alu 0xfffd
	v_cndmask_b32_e32 v8, 0x7c00, v8, vcc_lo
	v_cmp_eq_u32_e32 vcc_lo, 0x40f, v19
	v_lshrrev_b32_e32 v7, 16, v9
	s_wait_alu 0xfffd
	s_delay_alu instid0(VALU_DEP_3)
	v_dual_cndmask_b32 v5, v8, v5 :: v_dual_and_b32 v6, 0xffff, v6
	v_add_co_u32 v0, vcc_lo, v12, s2
	s_wait_alu 0xfffd
	v_add_co_ci_u32_e32 v1, vcc_lo, s3, v13, vcc_lo
	v_lshl_or_b32 v8, v10, 16, v4
	v_and_or_b32 v7, 0x8000, v7, v5
	v_add_co_u32 v4, vcc_lo, v0, s2
	s_wait_alu 0xfffd
	v_add_co_ci_u32_e32 v5, vcc_lo, s3, v1, vcc_lo
	s_delay_alu instid0(VALU_DEP_3) | instskip(NEXT) | instid1(VALU_DEP_3)
	v_lshl_or_b32 v9, v7, 16, v6
	v_add_co_u32 v6, vcc_lo, v4, s2
	s_wait_alu 0xfffd
	s_delay_alu instid0(VALU_DEP_3)
	v_add_co_ci_u32_e32 v7, vcc_lo, s3, v5, vcc_lo
	global_store_b32 v[2:3], v17, off
	global_store_b32 v[12:13], v18, off
	;; [unrolled: 1-line block ×5, first 2 shown]
.LBB0_10:
	s_nop 0
	s_sendmsg sendmsg(MSG_DEALLOC_VGPRS)
	s_endpgm
	.section	.rodata,"a",@progbits
	.p2align	6, 0x0
	.amdhsa_kernel bluestein_single_fwd_len891_dim1_half_op_CI_CI
		.amdhsa_group_segment_fixed_size 7128
		.amdhsa_private_segment_fixed_size 0
		.amdhsa_kernarg_size 104
		.amdhsa_user_sgpr_count 2
		.amdhsa_user_sgpr_dispatch_ptr 0
		.amdhsa_user_sgpr_queue_ptr 0
		.amdhsa_user_sgpr_kernarg_segment_ptr 1
		.amdhsa_user_sgpr_dispatch_id 0
		.amdhsa_user_sgpr_private_segment_size 0
		.amdhsa_wavefront_size32 1
		.amdhsa_uses_dynamic_stack 0
		.amdhsa_enable_private_segment 0
		.amdhsa_system_sgpr_workgroup_id_x 1
		.amdhsa_system_sgpr_workgroup_id_y 0
		.amdhsa_system_sgpr_workgroup_id_z 0
		.amdhsa_system_sgpr_workgroup_info 0
		.amdhsa_system_vgpr_workitem_id 0
		.amdhsa_next_free_vgpr 159
		.amdhsa_next_free_sgpr 20
		.amdhsa_reserve_vcc 1
		.amdhsa_float_round_mode_32 0
		.amdhsa_float_round_mode_16_64 0
		.amdhsa_float_denorm_mode_32 3
		.amdhsa_float_denorm_mode_16_64 3
		.amdhsa_fp16_overflow 0
		.amdhsa_workgroup_processor_mode 1
		.amdhsa_memory_ordered 1
		.amdhsa_forward_progress 0
		.amdhsa_round_robin_scheduling 0
		.amdhsa_exception_fp_ieee_invalid_op 0
		.amdhsa_exception_fp_denorm_src 0
		.amdhsa_exception_fp_ieee_div_zero 0
		.amdhsa_exception_fp_ieee_overflow 0
		.amdhsa_exception_fp_ieee_underflow 0
		.amdhsa_exception_fp_ieee_inexact 0
		.amdhsa_exception_int_div_zero 0
	.end_amdhsa_kernel
	.text
.Lfunc_end0:
	.size	bluestein_single_fwd_len891_dim1_half_op_CI_CI, .Lfunc_end0-bluestein_single_fwd_len891_dim1_half_op_CI_CI
                                        ; -- End function
	.section	.AMDGPU.csdata,"",@progbits
; Kernel info:
; codeLenInByte = 17644
; NumSgprs: 22
; NumVgprs: 159
; ScratchSize: 0
; MemoryBound: 0
; FloatMode: 240
; IeeeMode: 1
; LDSByteSize: 7128 bytes/workgroup (compile time only)
; SGPRBlocks: 2
; VGPRBlocks: 19
; NumSGPRsForWavesPerEU: 22
; NumVGPRsForWavesPerEU: 159
; Occupancy: 9
; WaveLimiterHint : 1
; COMPUTE_PGM_RSRC2:SCRATCH_EN: 0
; COMPUTE_PGM_RSRC2:USER_SGPR: 2
; COMPUTE_PGM_RSRC2:TRAP_HANDLER: 0
; COMPUTE_PGM_RSRC2:TGID_X_EN: 1
; COMPUTE_PGM_RSRC2:TGID_Y_EN: 0
; COMPUTE_PGM_RSRC2:TGID_Z_EN: 0
; COMPUTE_PGM_RSRC2:TIDIG_COMP_CNT: 0
	.text
	.p2alignl 7, 3214868480
	.fill 96, 4, 3214868480
	.type	__hip_cuid_304fe96838689ce1,@object ; @__hip_cuid_304fe96838689ce1
	.section	.bss,"aw",@nobits
	.globl	__hip_cuid_304fe96838689ce1
__hip_cuid_304fe96838689ce1:
	.byte	0                               ; 0x0
	.size	__hip_cuid_304fe96838689ce1, 1

	.ident	"AMD clang version 19.0.0git (https://github.com/RadeonOpenCompute/llvm-project roc-6.4.0 25133 c7fe45cf4b819c5991fe208aaa96edf142730f1d)"
	.section	".note.GNU-stack","",@progbits
	.addrsig
	.addrsig_sym __hip_cuid_304fe96838689ce1
	.amdgpu_metadata
---
amdhsa.kernels:
  - .args:
      - .actual_access:  read_only
        .address_space:  global
        .offset:         0
        .size:           8
        .value_kind:     global_buffer
      - .actual_access:  read_only
        .address_space:  global
        .offset:         8
        .size:           8
        .value_kind:     global_buffer
      - .actual_access:  read_only
        .address_space:  global
        .offset:         16
        .size:           8
        .value_kind:     global_buffer
      - .actual_access:  read_only
        .address_space:  global
        .offset:         24
        .size:           8
        .value_kind:     global_buffer
      - .actual_access:  read_only
        .address_space:  global
        .offset:         32
        .size:           8
        .value_kind:     global_buffer
      - .offset:         40
        .size:           8
        .value_kind:     by_value
      - .address_space:  global
        .offset:         48
        .size:           8
        .value_kind:     global_buffer
      - .address_space:  global
        .offset:         56
        .size:           8
        .value_kind:     global_buffer
      - .address_space:  global
        .offset:         64
        .size:           8
        .value_kind:     global_buffer
      - .address_space:  global
        .offset:         72
        .size:           8
        .value_kind:     global_buffer
      - .offset:         80
        .size:           4
        .value_kind:     by_value
      - .address_space:  global
        .offset:         88
        .size:           8
        .value_kind:     global_buffer
      - .address_space:  global
        .offset:         96
        .size:           8
        .value_kind:     global_buffer
    .group_segment_fixed_size: 7128
    .kernarg_segment_align: 8
    .kernarg_segment_size: 104
    .language:       OpenCL C
    .language_version:
      - 2
      - 0
    .max_flat_workgroup_size: 198
    .name:           bluestein_single_fwd_len891_dim1_half_op_CI_CI
    .private_segment_fixed_size: 0
    .sgpr_count:     22
    .sgpr_spill_count: 0
    .symbol:         bluestein_single_fwd_len891_dim1_half_op_CI_CI.kd
    .uniform_work_group_size: 1
    .uses_dynamic_stack: false
    .vgpr_count:     159
    .vgpr_spill_count: 0
    .wavefront_size: 32
    .workgroup_processor_mode: 1
amdhsa.target:   amdgcn-amd-amdhsa--gfx1201
amdhsa.version:
  - 1
  - 2
...

	.end_amdgpu_metadata
